;; amdgpu-corpus repo=GPUOpen-LibrariesAndSDKs/Orochi kind=compiled arch=gfx1030 opt=O3
	.amdgcn_target "amdgcn-amd-amdhsa--gfx1030"
	.amdhsa_code_object_version 6
	.text
	.protected	SortSinglePassKernel    ; -- Begin function SortSinglePassKernel
	.globl	SortSinglePassKernel
	.p2align	8
	.type	SortSinglePassKernel,@function
SortSinglePassKernel:                   ; @SortSinglePassKernel
; %bb.0:
	s_mov_b64 s[46:47], s[2:3]
	s_mov_b64 s[44:45], s[0:1]
	s_add_u32 s44, s44, s7
	s_addc_u32 s45, s45, 0
	s_cmp_lg_u32 s6, 0
	s_cbranch_scc0 .LBB0_2
.LBB0_1:
	s_endpgm
.LBB0_2:
	s_load_dwordx8 s[36:43], s[4:5], 0x0
	v_mul_u32_u24_e32 v25, 24, v0
	v_mov_b32_e32 v2, -1
	v_mov_b32_e32 v1, -1
	v_lshlrev_b32_e32 v33, 2, v25
	s_waitcnt lgkmcnt(0)
	v_cmp_gt_i32_e32 vcc_lo, s40, v25
	s_and_saveexec_b32 s0, vcc_lo
	s_cbranch_execz .LBB0_4
; %bb.3:
	global_load_dword v1, v33, s[36:37]
.LBB0_4:
	s_or_b32 exec_lo, exec_lo, s0
	v_or_b32_e32 v3, 1, v25
	s_waitcnt vmcnt(0)
	ds_write_b32 v33, v1
	v_cmp_gt_i32_e64 s0, s40, v3
	s_and_saveexec_b32 s1, s0
	s_cbranch_execz .LBB0_6
; %bb.5:
	global_load_dword v2, v33, s[36:37] offset:4
.LBB0_6:
	s_or_b32 exec_lo, exec_lo, s1
	v_or_b32_e32 v3, 2, v25
	v_mov_b32_e32 v4, -1
	s_waitcnt vmcnt(0)
	ds_write_b32 v33, v2 offset:4
	v_cmp_gt_i32_e64 s1, s40, v3
	v_mov_b32_e32 v3, -1
	s_and_saveexec_b32 s2, s1
	s_cbranch_execz .LBB0_8
; %bb.7:
	global_load_dword v3, v33, s[36:37] offset:8
.LBB0_8:
	s_or_b32 exec_lo, exec_lo, s2
	v_or_b32_e32 v5, 3, v25
	s_waitcnt vmcnt(0)
	ds_write_b32 v33, v3 offset:8
	v_cmp_gt_i32_e64 s2, s40, v5
	s_and_saveexec_b32 s3, s2
	s_cbranch_execz .LBB0_10
; %bb.9:
	global_load_dword v4, v33, s[36:37] offset:12
.LBB0_10:
	s_or_b32 exec_lo, exec_lo, s3
	v_or_b32_e32 v5, 4, v25
	v_mov_b32_e32 v6, -1
	s_waitcnt vmcnt(0)
	ds_write_b32 v33, v4 offset:12
	v_cmp_gt_i32_e64 s3, s40, v5
	v_mov_b32_e32 v5, -1
	s_and_saveexec_b32 s4, s3
	s_cbranch_execz .LBB0_12
; %bb.11:
	global_load_dword v5, v33, s[36:37] offset:16
.LBB0_12:
	s_or_b32 exec_lo, exec_lo, s4
	v_or_b32_e32 v7, 5, v25
	s_waitcnt vmcnt(0)
	ds_write_b32 v33, v5 offset:16
	;; [unrolled: 22-line block ×3, first 2 shown]
	v_cmp_gt_i32_e64 s6, s40, v9
	s_and_saveexec_b32 s7, s6
	s_cbranch_execz .LBB0_18
; %bb.17:
	global_load_dword v8, v33, s[36:37] offset:28
.LBB0_18:
	s_or_b32 exec_lo, exec_lo, s7
	v_add_nc_u32_e32 v9, 8, v25
	v_mov_b32_e32 v10, -1
	s_waitcnt vmcnt(0)
	ds_write_b32 v33, v8 offset:28
	v_cmp_gt_i32_e64 s7, s40, v9
	v_mov_b32_e32 v9, -1
	s_and_saveexec_b32 s8, s7
	s_cbranch_execz .LBB0_20
; %bb.19:
	global_load_dword v9, v33, s[36:37] offset:32
.LBB0_20:
	s_or_b32 exec_lo, exec_lo, s8
	v_add_nc_u32_e32 v11, 9, v25
	s_waitcnt vmcnt(0)
	ds_write_b32 v33, v9 offset:32
	v_cmp_gt_i32_e64 s8, s40, v11
	s_and_saveexec_b32 s9, s8
	s_cbranch_execz .LBB0_22
; %bb.21:
	global_load_dword v10, v33, s[36:37] offset:36
.LBB0_22:
	s_or_b32 exec_lo, exec_lo, s9
	v_add_nc_u32_e32 v11, 10, v25
	v_mov_b32_e32 v12, -1
	s_waitcnt vmcnt(0)
	ds_write_b32 v33, v10 offset:36
	v_cmp_gt_i32_e64 s9, s40, v11
	v_mov_b32_e32 v11, -1
	s_and_saveexec_b32 s10, s9
	s_cbranch_execz .LBB0_24
; %bb.23:
	global_load_dword v11, v33, s[36:37] offset:40
.LBB0_24:
	s_or_b32 exec_lo, exec_lo, s10
	v_add_nc_u32_e32 v13, 11, v25
	s_waitcnt vmcnt(0)
	ds_write_b32 v33, v11 offset:40
	;; [unrolled: 22-line block ×8, first 2 shown]
	v_cmp_gt_i32_e64 s22, s40, v25
	s_and_saveexec_b32 s23, s22
	s_cbranch_execz .LBB0_50
; %bb.49:
	global_load_dword v24, v33, s[36:37] offset:92
.LBB0_50:
	s_or_b32 exec_lo, exec_lo, s23
	s_cmp_lt_i32 s41, s42
	s_waitcnt vmcnt(0)
	ds_write_b32 v33, v24 offset:92
	s_waitcnt lgkmcnt(0)
	s_barrier
	buffer_gl0_inv
	s_cbranch_scc0 .LBB0_149
; %bb.51:
	v_lshlrev_b32_e32 v25, 1, v0
	v_lshlrev_b32_e32 v34, 3, v0
	v_lshl_add_u32 v35, v0, 5, 0x3000
	s_mov_b32 s30, 0
	v_mul_i32_i24_e32 v27, 0xffffffe4, v0
	v_or_b32_e32 v26, 1, v25
	v_add_nc_u32_e32 v25, 2, v25
	s_mov_b32 s31, s30
	s_mov_b32 s34, s30
	;; [unrolled: 1-line block ×3, first 2 shown]
	v_mov_b32_e32 v127, s31
	v_mov_b32_e32 v28, s34
	v_add_nc_u32_e32 v36, 0x4020, v34
	v_cmp_gt_u32_e64 s23, 64, v0
	v_cmp_gt_u32_e64 s24, 32, v0
	;; [unrolled: 1-line block ×6, first 2 shown]
	v_cmp_eq_u32_e64 s29, 0, v0
	v_lshlrev_b32_e32 v37, 4, v25
	v_lshlrev_b32_e32 v38, 4, v26
	;; [unrolled: 1-line block ×14, first 2 shown]
	v_mul_u32_u24_e32 v51, 0x60, v0
	v_mov_b32_e32 v25, 0
	v_mov_b32_e32 v126, s30
	;; [unrolled: 1-line block ×3, first 2 shown]
	v_add_nc_u32_e32 v52, v35, v27
	v_mov_b32_e32 v53, 2
	buffer_store_dword v28, off, s[44:47], 0 ; 4-byte Folded Spill
	buffer_store_dword v29, off, s[44:47], 0 offset:4 ; 4-byte Folded Spill
	s_branch .LBB0_53
.LBB0_52:                               ;   in Loop: Header=BB0_53 Depth=1
	s_or_b32 exec_lo, exec_lo, s30
	s_waitcnt lgkmcnt(0)
	s_barrier
	buffer_gl0_inv
	s_barrier
	buffer_gl0_inv
	;; [unrolled: 2-line block ×3, first 2 shown]
	ds_read_u16 v26, v58
	v_lshl_or_b32 v27, v56, 3, v57
	v_lshl_or_b32 v29, v59, 3, v65
	;; [unrolled: 1-line block ×5, first 2 shown]
	ds_read_u16 v27, v27 offset:16384
	v_lshl_or_b32 v62, v70, 3, v77
	v_lshl_or_b32 v68, v80, 3, v89
	;; [unrolled: 1-line block ×6, first 2 shown]
	s_add_i32 s41, s41, 8
	s_cmp_ge_i32 s41, s42
	s_waitcnt lgkmcnt(1)
	v_add_nc_u16 v28, v26, 1
	v_lshlrev_b32_sdwa v26, v53, v26 dst_sel:DWORD dst_unused:UNUSED_PAD src0_sel:DWORD src1_sel:WORD_0
	ds_write_b16 v58, v28
	ds_read_u16 v28, v61
	ds_read_u16 v29, v29 offset:16384
	v_lshl_or_b32 v58, v64, 3, v73
	v_lshl_or_b32 v64, v75, 3, v81
	s_waitcnt lgkmcnt(3)
	v_lshl_add_u32 v26, v27, 2, v26
	ds_write_b32 v26, v4
	s_waitcnt lgkmcnt(2)
	v_add_nc_u16 v30, v28, 1
	v_lshlrev_b32_sdwa v28, v53, v28 dst_sel:DWORD dst_unused:UNUSED_PAD src0_sel:DWORD src1_sel:WORD_0
	ds_write_b16 v61, v30
	ds_read_u16 v30, v63
	ds_read_u16 v31, v31 offset:16384
	s_waitcnt lgkmcnt(4)
	v_lshl_add_u32 v28, v29, 2, v28
	ds_write_b32 v28, v5
	s_waitcnt lgkmcnt(2)
	v_add_nc_u16 v32, v30, 1
	v_lshlrev_b32_sdwa v4, v53, v30 dst_sel:DWORD dst_unused:UNUSED_PAD src0_sel:DWORD src1_sel:WORD_0
	ds_write_b16 v63, v32
	ds_read_u16 v32, v66
	ds_read_u16 v56, v56 offset:16384
	s_waitcnt lgkmcnt(4)
	v_lshl_add_u32 v4, v31, 2, v4
	s_waitcnt lgkmcnt(1)
	v_add_nc_u16 v57, v32, 1
	v_lshlrev_b32_sdwa v26, v53, v32 dst_sel:DWORD dst_unused:UNUSED_PAD src0_sel:DWORD src1_sel:WORD_0
	ds_write_b16 v66, v57
	ds_read_u16 v57, v69
	ds_read_u16 v58, v58 offset:16384
	v_lshl_or_b32 v66, v79, 3, v86
	v_lshl_or_b32 v86, v108, 3, v116
	s_waitcnt lgkmcnt(3)
	v_lshl_add_u32 v26, v56, 2, v26
	s_waitcnt lgkmcnt(1)
	v_add_nc_u16 v59, v57, 1
	v_lshlrev_b32_sdwa v30, v53, v57 dst_sel:DWORD dst_unused:UNUSED_PAD src0_sel:DWORD src1_sel:WORD_0
	ds_write_b16 v69, v59
	ds_read_u16 v59, v72
	ds_read_u16 v60, v60 offset:16384
	s_waitcnt lgkmcnt(3)
	v_lshl_add_u32 v30, v58, 2, v30
	s_waitcnt lgkmcnt(1)
	v_add_nc_u16 v61, v59, 1
	v_lshlrev_b32_sdwa v29, v53, v59 dst_sel:DWORD dst_unused:UNUSED_PAD src0_sel:DWORD src1_sel:WORD_0
	ds_write_b16 v72, v61
	ds_read_u16 v61, v74
	ds_read_u16 v62, v62 offset:16384
	v_lshl_or_b32 v72, v85, 3, v95
	s_waitcnt lgkmcnt(3)
	v_lshl_add_u32 v5, v60, 2, v29
	s_waitcnt lgkmcnt(1)
	v_add_nc_u16 v63, v61, 1
	ds_write_b16 v74, v63
	ds_read_u16 v63, v78
	ds_read_u16 v64, v64 offset:16384
	v_lshl_or_b32 v74, v88, 3, v97
	v_lshl_or_b32 v88, v110, 3, v117
	s_waitcnt lgkmcnt(1)
	v_add_nc_u16 v65, v63, 1
	ds_write_b16 v78, v65
	ds_read_u16 v65, v82
	ds_read_u16 v66, v66 offset:16384
	v_lshl_or_b32 v78, v94, 3, v101
	s_waitcnt lgkmcnt(1)
	v_add_nc_u16 v67, v65, 1
	ds_write_b16 v82, v67
	ds_read_u16 v67, v84
	ds_read_u16 v68, v68 offset:16384
	;; [unrolled: 6-line block ×4, first 2 shown]
	s_waitcnt lgkmcnt(1)
	v_add_nc_u16 v73, v71, 1
	ds_write_b16 v90, v73
	ds_read_u16 v73, v93
	ds_read_u16 v74, v74 offset:16384
	v_lshl_or_b32 v90, v113, 3, v119
	s_waitcnt lgkmcnt(1)
	v_add_nc_u16 v75, v73, 1
	ds_write_b16 v93, v75
	ds_read_u16 v75, v96
	ds_read_u16 v76, v76 offset:16384
	v_lshl_or_b32 v93, v121, 3, v124
	s_waitcnt lgkmcnt(1)
	v_add_nc_u16 v77, v75, 1
	ds_write_b16 v96, v77
	ds_read_u16 v77, v98
	ds_read_u16 v78, v78 offset:16384
	s_waitcnt lgkmcnt(1)
	v_add_nc_u16 v79, v77, 1
	ds_write_b16 v98, v79
	ds_read_u16 v79, v102
	ds_read_u16 v80, v80 offset:16384
	;; [unrolled: 5-line block ×8, first 2 shown]
	ds_write_b32 v4, v6
	ds_write_b32 v26, v7
	;; [unrolled: 1-line block ×3, first 2 shown]
	v_lshl_or_b32 v92, v118, 3, v122
	ds_write_b32 v5, v1
	v_lshlrev_b32_sdwa v1, v53, v61 dst_sel:DWORD dst_unused:UNUSED_PAD src0_sel:DWORD src1_sel:WORD_0
	v_lshlrev_b32_sdwa v4, v53, v63 dst_sel:DWORD dst_unused:UNUSED_PAD src0_sel:DWORD src1_sel:WORD_0
	;; [unrolled: 1-line block ×5, first 2 shown]
	v_lshl_add_u32 v1, v62, 2, v1
	v_lshl_add_u32 v4, v64, 2, v4
	;; [unrolled: 1-line block ×3, first 2 shown]
	s_waitcnt lgkmcnt(5)
	v_add_nc_u16 v0, v91, 1
	ds_write_b16 v55, v0
	ds_read_u16 v0, v92 offset:16384
	ds_read_u16 v6, v54
	ds_write_b32 v1, v2
	ds_write_b32 v4, v3
	;; [unrolled: 1-line block ×3, first 2 shown]
	v_lshl_add_u32 v1, v68, 2, v7
	v_lshlrev_b32_sdwa v3, v53, v71 dst_sel:DWORD dst_unused:UNUSED_PAD src0_sel:DWORD src1_sel:WORD_0
	v_lshlrev_b32_sdwa v5, v53, v75 dst_sel:DWORD dst_unused:UNUSED_PAD src0_sel:DWORD src1_sel:WORD_0
	v_lshl_add_u32 v2, v70, 2, v26
	v_lshlrev_b32_sdwa v4, v53, v73 dst_sel:DWORD dst_unused:UNUSED_PAD src0_sel:DWORD src1_sel:WORD_0
	ds_write_b32 v1, v13
	ds_write_b32 v2, v14
	v_lshl_add_u32 v1, v72, 2, v3
	v_lshl_add_u32 v3, v76, 2, v5
	;; [unrolled: 1-line block ×3, first 2 shown]
	v_lshlrev_b32_sdwa v4, v53, v77 dst_sel:DWORD dst_unused:UNUSED_PAD src0_sel:DWORD src1_sel:WORD_0
	ds_write_b32 v1, v15
	ds_write_b32 v2, v8
	;; [unrolled: 1-line block ×3, first 2 shown]
	v_lshlrev_b32_sdwa v7, v53, v83 dst_sel:DWORD dst_unused:UNUSED_PAD src0_sel:DWORD src1_sel:WORD_0
	v_lshl_add_u32 v1, v78, 2, v4
	v_lshlrev_b32_sdwa v4, v53, v79 dst_sel:DWORD dst_unused:UNUSED_PAD src0_sel:DWORD src1_sel:WORD_0
	s_waitcnt lgkmcnt(8)
	v_add_nc_u16 v5, v6, 1
	v_lshlrev_b32_sdwa v8, v53, v87 dst_sel:DWORD dst_unused:UNUSED_PAD src0_sel:DWORD src1_sel:WORD_0
	v_lshl_add_u32 v7, v84, 2, v7
	v_lshlrev_b32_sdwa v6, v53, v6 dst_sel:DWORD dst_unused:UNUSED_PAD src0_sel:DWORD src1_sel:WORD_0
	v_lshl_add_u32 v4, v80, 2, v4
	ds_write_b16 v54, v5
	ds_read_u16 v2, v93 offset:16384
	ds_read_u16 v3, v24
	v_lshlrev_b32_sdwa v5, v53, v81 dst_sel:DWORD dst_unused:UNUSED_PAD src0_sel:DWORD src1_sel:WORD_0
	ds_write_b32 v1, v10
	v_lshlrev_b32_sdwa v1, v53, v85 dst_sel:DWORD dst_unused:UNUSED_PAD src0_sel:DWORD src1_sel:WORD_0
	v_lshl_add_u32 v0, v0, 2, v6
	v_lshl_add_u32 v5, v82, 2, v5
	ds_write_b32 v4, v11
	ds_write_b32 v5, v20
	;; [unrolled: 1-line block ×3, first 2 shown]
	v_lshl_add_u32 v1, v86, 2, v1
	v_lshl_add_u32 v4, v88, 2, v8
	v_lshlrev_b32_sdwa v5, v53, v91 dst_sel:DWORD dst_unused:UNUSED_PAD src0_sel:DWORD src1_sel:WORD_0
	ds_write_b32 v1, v22
	v_lshlrev_b32_sdwa v1, v53, v89 dst_sel:DWORD dst_unused:UNUSED_PAD src0_sel:DWORD src1_sel:WORD_0
	ds_write_b32 v4, v23
	v_lshl_add_u32 v5, v27, 2, v5
	s_waitcnt lgkmcnt(6)
	v_lshlrev_b32_sdwa v4, v53, v3 dst_sel:DWORD dst_unused:UNUSED_PAD src0_sel:DWORD src1_sel:WORD_0
	v_add_nc_u16 v3, v3, 1
	v_lshl_add_u32 v1, v90, 2, v1
	v_lshl_add_u32 v2, v2, 2, v4
	ds_write_b32 v1, v16
	ds_write_b32 v5, v17
	;; [unrolled: 1-line block ×3, first 2 shown]
	ds_write_b16 v24, v3
	ds_write_b32 v2, v19
	s_waitcnt lgkmcnt(0)
	s_barrier
	buffer_gl0_inv
	ds_read_b128 v[1:4], v51
	ds_read_b128 v[5:8], v51 offset:16
	ds_read_b128 v[9:12], v51 offset:32
	;; [unrolled: 1-line block ×5, first 2 shown]
	s_cbranch_scc1 .LBB0_149
.LBB0_53:                               ; =>This Loop Header: Depth=1
                                        ;     Child Loop BB0_55 Depth 2
                                        ;     Child Loop BB0_103 Depth 2
	s_waitcnt lgkmcnt(5)
	v_ashrrev_i32_e32 v0, s41, v1
	s_mov_b32 s31, 0
	v_bfe_u32 v55, v0, 2, 2
	v_and_b32_e32 v0, 3, v0
	v_lshlrev_b32_e32 v26, 3, v55
	v_lshlrev_b32_e32 v61, 1, v0
	v_add3_u32 v56, v35, v26, v61
	s_clause 0x1
	buffer_load_dword v26, off, s[44:47], 0
	buffer_load_dword v27, off, s[44:47], 0 offset:4
	s_waitcnt vmcnt(0)
	ds_write2_b64 v35, v[126:127], v[26:27] offset1:1
	ds_write2_b64 v35, v[126:127], v[26:27] offset0:2 offset1:3
	ds_read_u16 v0, v56
	v_ashrrev_i32_e32 v26, s41, v2
	v_bfe_u32 v57, v26, 2, 2
	v_and_b32_e32 v26, 3, v26
	v_lshlrev_b32_e32 v27, 3, v57
	v_lshlrev_b32_e32 v64, 1, v26
	v_ashrrev_i32_e32 v26, s41, v3
	v_add3_u32 v59, v35, v27, v64
	v_bfe_u32 v58, v26, 2, 2
	v_and_b32_e32 v26, 3, v26
	s_waitcnt lgkmcnt(0)
	v_add_nc_u16 v0, v0, 1
	v_lshlrev_b32_e32 v27, 3, v58
	v_lshlrev_b32_e32 v67, 1, v26
	ds_write_b16 v56, v0
	ds_read_u16 v0, v59
	v_ashrrev_i32_e32 v26, s41, v4
	v_add3_u32 v62, v35, v27, v67
	v_bfe_u32 v60, v26, 2, 2
	v_and_b32_e32 v26, 3, v26
	v_lshlrev_b32_e32 v27, 3, v60
	v_lshlrev_b32_e32 v70, 1, v26
	v_ashrrev_i32_e32 v26, s41, v5
	v_add3_u32 v65, v35, v27, v70
	v_bfe_u32 v63, v26, 2, 2
	v_and_b32_e32 v26, 3, v26
	s_waitcnt lgkmcnt(0)
	v_add_nc_u16 v0, v0, 1
	v_lshlrev_b32_e32 v27, 3, v63
	v_lshlrev_b32_e32 v73, 1, v26
	ds_write_b16 v59, v0
	ds_read_u16 v0, v62
	v_ashrrev_i32_e32 v26, s41, v6
	v_add3_u32 v68, v35, v27, v73
	;; [unrolled: 16-line block ×4, first 2 shown]
	v_bfe_u32 v78, v26, 2, 2
	v_and_b32_e32 v26, 3, v26
	v_lshlrev_b32_e32 v27, 3, v78
	v_lshlrev_b32_e32 v86, 1, v26
	v_ashrrev_i32_e32 v26, s41, v11
	v_add3_u32 v82, v35, v27, v86
	v_and_b32_e32 v27, 3, v26
	v_bfe_u32 v84, v26, 2, 2
	s_waitcnt lgkmcnt(0)
	v_add_nc_u16 v0, v0, 1
	v_lshlrev_b32_e32 v88, 1, v27
	v_lshlrev_b32_e32 v26, 3, v84
	ds_write_b16 v68, v0
	ds_read_u16 v0, v71
	v_add3_u32 v87, v35, v26, v88
	v_ashrrev_i32_e32 v26, s41, v12
	v_and_b32_e32 v27, 3, v26
	v_bfe_u32 v89, v26, 2, 2
	v_lshlrev_b32_e32 v91, 1, v27
	v_lshlrev_b32_e32 v26, 3, v89
	v_add3_u32 v90, v35, v26, v91
	s_waitcnt lgkmcnt(0)
	v_add_nc_u16 v0, v0, 1
	v_ashrrev_i32_e32 v26, s41, v13
	ds_write_b16 v71, v0
	ds_read_u16 v0, v74
	v_and_b32_e32 v27, 3, v26
	v_bfe_u32 v92, v26, 2, 2
	v_lshlrev_b32_e32 v94, 1, v27
	v_lshlrev_b32_e32 v26, 3, v92
	v_add3_u32 v93, v35, v26, v94
	v_ashrrev_i32_e32 v26, s41, v14
	v_and_b32_e32 v27, 3, v26
	v_bfe_u32 v95, v26, 2, 2
	s_waitcnt lgkmcnt(0)
	v_add_nc_u16 v0, v0, 1
	v_lshlrev_b32_e32 v97, 1, v27
	v_lshlrev_b32_e32 v26, 3, v95
	ds_write_b16 v74, v0
	ds_read_u16 v0, v77
	v_add3_u32 v96, v35, v26, v97
	v_ashrrev_i32_e32 v26, s41, v15
	v_and_b32_e32 v27, 3, v26
	v_bfe_u32 v98, v26, 2, 2
	v_lshlrev_b32_e32 v100, 1, v27
	v_lshlrev_b32_e32 v26, 3, v98
	v_add3_u32 v99, v35, v26, v100
	s_waitcnt lgkmcnt(0)
	v_add_nc_u16 v0, v0, 1
	v_ashrrev_i32_e32 v26, s41, v16
	ds_write_b16 v77, v0
	ds_read_u16 v0, v80
	v_and_b32_e32 v27, 3, v26
	v_bfe_u32 v101, v26, 2, 2
	v_lshlrev_b32_e32 v103, 1, v27
	v_lshlrev_b32_e32 v26, 3, v101
	v_add3_u32 v102, v35, v26, v103
	v_ashrrev_i32_e32 v26, s41, v17
	v_and_b32_e32 v27, 3, v26
	v_bfe_u32 v104, v26, 2, 2
	s_waitcnt lgkmcnt(0)
	v_add_nc_u16 v0, v0, 1
	v_lshlrev_b32_e32 v106, 1, v27
	v_lshlrev_b32_e32 v26, 3, v104
	ds_write_b16 v80, v0
	ds_read_u16 v0, v82
	v_add3_u32 v105, v35, v26, v106
	v_ashrrev_i32_e32 v26, s41, v18
	v_and_b32_e32 v27, 3, v26
	v_bfe_u32 v107, v26, 2, 2
	v_lshlrev_b32_e32 v109, 1, v27
	v_lshlrev_b32_e32 v26, 3, v107
	s_waitcnt lgkmcnt(0)
	v_add_nc_u16 v0, v0, 1
	v_add3_u32 v108, v35, v26, v109
	v_ashrrev_i32_e32 v26, s41, v19
	ds_write_b16 v82, v0
	ds_read_u16 v0, v87
	v_and_b32_e32 v27, 3, v26
	v_bfe_u32 v110, v26, 2, 2
	v_lshlrev_b32_e32 v113, 1, v27
	v_lshlrev_b32_e32 v26, 3, v110
	v_add3_u32 v111, v35, v26, v113
	v_ashrrev_i32_e32 v26, s41, v20
	v_and_b32_e32 v27, 3, v26
	v_bfe_u32 v114, v26, 2, 2
	s_waitcnt lgkmcnt(0)
	v_add_nc_u16 v0, v0, 1
	v_lshlrev_b32_e32 v116, 1, v27
	v_lshlrev_b32_e32 v26, 3, v114
	ds_write_b16 v87, v0
	ds_read_u16 v0, v90
	v_add3_u32 v115, v35, v26, v116
	v_ashrrev_i32_e32 v26, s41, v21
	v_and_b32_e32 v27, 3, v26
	v_bfe_u32 v117, v26, 2, 2
	v_lshlrev_b32_e32 v118, 1, v27
	v_lshlrev_b32_e32 v26, 3, v117
	s_waitcnt lgkmcnt(0)
	v_add_nc_u16 v0, v0, 1
	v_add3_u32 v112, v35, v26, v118
	v_ashrrev_i32_e32 v26, s41, v22
	ds_write_b16 v90, v0
	ds_read_u16 v0, v93
	v_and_b32_e32 v27, 3, v26
	v_bfe_u32 v119, v26, 2, 2
	v_lshlrev_b32_e32 v121, 1, v27
	v_lshlrev_b32_e32 v26, 3, v119
	v_add3_u32 v85, v35, v26, v121
	v_ashrrev_i32_e32 v26, s41, v23
	v_and_b32_e32 v27, 3, v26
	v_bfe_u32 v120, v26, 2, 2
	s_waitcnt lgkmcnt(0)
	v_add_nc_u16 v0, v0, 1
	v_lshlrev_b32_e32 v122, 1, v27
	v_lshlrev_b32_e32 v26, 3, v120
	ds_write_b16 v93, v0
	ds_read_u16 v0, v96
	v_add3_u32 v54, v35, v26, v122
	v_ashrrev_i32_e32 v26, s41, v24
	v_and_b32_e32 v27, 3, v26
	v_bfe_u32 v123, v26, 2, 2
	v_lshlrev_b32_e32 v124, 1, v27
	v_lshlrev_b32_e32 v26, 3, v123
	s_waitcnt lgkmcnt(0)
	v_add_nc_u16 v0, v0, 1
	ds_write_b16 v96, v0
	ds_read_u16 v0, v99
	s_waitcnt lgkmcnt(0)
	v_add_nc_u16 v0, v0, 1
	ds_write_b16 v99, v0
	ds_read_u16 v0, v102
	;; [unrolled: 4-line block ×9, first 2 shown]
	s_waitcnt lgkmcnt(0)
	v_add_nc_u16 v27, v0, 1
	v_add3_u32 v0, v35, v26, v124
	ds_write_b16 v54, v27
	ds_read_u16 v26, v0
	s_waitcnt lgkmcnt(0)
	v_add_nc_u16 v26, v26, 1
	ds_write_b16 v0, v26
	s_waitcnt lgkmcnt(0)
	s_waitcnt_vscnt null, 0x0
	s_barrier
	buffer_gl0_inv
	s_branch .LBB0_55
.LBB0_54:                               ;   in Loop: Header=BB0_55 Depth=2
	s_or_b32 exec_lo, exec_lo, s30
	s_add_i32 s31, s31, 8
	s_cmp_eq_u32 s31, 32
	s_cbranch_scc1 .LBB0_85
.LBB0_55:                               ;   Parent Loop BB0_53 Depth=1
                                        ; =>  This Inner Loop Header: Depth=2
	v_add_nc_u32_e32 v125, s31, v35
	ds_read_b64 v[26:27], v125
	s_waitcnt lgkmcnt(0)
	ds_write_b64 v36, v[26:27]
	s_waitcnt lgkmcnt(0)
	s_barrier
	buffer_gl0_inv
	s_and_saveexec_b32 s33, s23
	s_cbranch_execz .LBB0_57
; %bb.56:                               ;   in Loop: Header=BB0_55 Depth=2
	v_add_nc_u32_e32 v30, v36, v34
	ds_read_b128 v[26:29], v30
	s_waitcnt lgkmcnt(0)
	v_add_co_u32 v26, s30, v28, v26
	v_add_co_ci_u32_e64 v27, null, v29, v27, s30
	ds_write_b64 v30, v[26:27] offset:8
.LBB0_57:                               ;   in Loop: Header=BB0_55 Depth=2
	s_or_b32 exec_lo, exec_lo, s33
	s_waitcnt lgkmcnt(0)
	s_barrier
	buffer_gl0_inv
	s_and_saveexec_b32 s33, s24
	s_cbranch_execz .LBB0_59
; %bb.58:                               ;   in Loop: Header=BB0_55 Depth=2
	ds_read_b64 v[26:27], v38 offset:16408
	ds_read_b64 v[28:29], v37 offset:16408
	s_waitcnt lgkmcnt(0)
	v_add_co_u32 v26, s30, v28, v26
	v_add_co_ci_u32_e64 v27, null, v29, v27, s30
	ds_write_b64 v37, v[26:27] offset:16408
.LBB0_59:                               ;   in Loop: Header=BB0_55 Depth=2
	s_or_b32 exec_lo, exec_lo, s33
	s_waitcnt lgkmcnt(0)
	s_barrier
	buffer_gl0_inv
	s_and_saveexec_b32 s33, s25
	s_cbranch_execz .LBB0_61
; %bb.60:                               ;   in Loop: Header=BB0_55 Depth=2
	ds_read_b64 v[26:27], v40 offset:16408
	ds_read_b64 v[28:29], v39 offset:16408
	s_waitcnt lgkmcnt(0)
	v_add_co_u32 v26, s30, v28, v26
	v_add_co_ci_u32_e64 v27, null, v29, v27, s30
	ds_write_b64 v39, v[26:27] offset:16408
.LBB0_61:                               ;   in Loop: Header=BB0_55 Depth=2
	;; [unrolled: 14-line block ×5, first 2 shown]
	s_or_b32 exec_lo, exec_lo, s33
	s_waitcnt lgkmcnt(0)
	s_barrier
	buffer_gl0_inv
	s_and_saveexec_b32 s33, s29
	s_cbranch_execz .LBB0_69
; %bb.68:                               ;   in Loop: Header=BB0_55 Depth=2
	v_add_nc_u32_e64 v26, 24, 0
	ds_read2st64_b64 v[26:29], v26 offset0:33 offset1:34
	s_waitcnt lgkmcnt(0)
	v_add_co_u32 v26, s30, v28, v26
	v_add_co_ci_u32_e64 v27, null, v29, v27, s30
	ds_write_b64 v25, v[26:27] offset:17432
.LBB0_69:                               ;   in Loop: Header=BB0_55 Depth=2
	s_or_b32 exec_lo, exec_lo, s33
	s_waitcnt lgkmcnt(0)
	s_barrier
	buffer_gl0_inv
	s_barrier
	buffer_gl0_inv
	s_and_saveexec_b32 s33, s29
	s_cbranch_execz .LBB0_71
; %bb.70:                               ;   in Loop: Header=BB0_55 Depth=2
	ds_read_b64 v[27:28], v25 offset:17432
	v_mov_b32_e32 v26, v25
	v_add_nc_u32_e64 v30, 24, 0
	s_waitcnt lgkmcnt(0)
	ds_write_b64 v25, v[27:28] offset:17440
	s_waitcnt lgkmcnt(0)
	buffer_gl0_inv
	ds_write_b64 v25, v[25:26] offset:17432
	s_waitcnt lgkmcnt(0)
	buffer_gl0_inv
	ds_read2st64_b64 v[26:29], v30 offset0:33 offset1:34
	s_waitcnt lgkmcnt(0)
	v_add_co_u32 v26, s30, v28, v26
	v_add_co_ci_u32_e64 v27, null, v29, v27, s30
	ds_write2st64_b64 v30, v[28:29], v[26:27] offset0:33 offset1:34
.LBB0_71:                               ;   in Loop: Header=BB0_55 Depth=2
	s_or_b32 exec_lo, exec_lo, s33
	s_waitcnt lgkmcnt(0)
	s_barrier
	buffer_gl0_inv
	s_and_saveexec_b32 s33, s28
	s_cbranch_execz .LBB0_73
; %bb.72:                               ;   in Loop: Header=BB0_55 Depth=2
	ds_read_b64 v[26:27], v46 offset:16408
	ds_read_b64 v[28:29], v45 offset:16408
	s_waitcnt lgkmcnt(0)
	v_add_co_u32 v26, s30, v28, v26
	v_add_co_ci_u32_e64 v27, null, v29, v27, s30
	ds_write_b64 v46, v[28:29] offset:16408
	ds_write_b64 v45, v[26:27] offset:16408
.LBB0_73:                               ;   in Loop: Header=BB0_55 Depth=2
	s_or_b32 exec_lo, exec_lo, s33
	s_waitcnt lgkmcnt(0)
	s_barrier
	buffer_gl0_inv
	s_and_saveexec_b32 s33, s27
	s_cbranch_execz .LBB0_75
; %bb.74:                               ;   in Loop: Header=BB0_55 Depth=2
	ds_read_b64 v[26:27], v44 offset:16408
	ds_read_b64 v[28:29], v43 offset:16408
	s_waitcnt lgkmcnt(0)
	v_add_co_u32 v26, s30, v28, v26
	v_add_co_ci_u32_e64 v27, null, v29, v27, s30
	ds_write_b64 v44, v[28:29] offset:16408
	ds_write_b64 v43, v[26:27] offset:16408
.LBB0_75:                               ;   in Loop: Header=BB0_55 Depth=2
	;; [unrolled: 15-line block ×5, first 2 shown]
	s_or_b32 exec_lo, exec_lo, s33
	s_waitcnt lgkmcnt(0)
	s_barrier
	buffer_gl0_inv
	s_and_saveexec_b32 s33, s23
	s_cbranch_execz .LBB0_83
; %bb.82:                               ;   in Loop: Header=BB0_55 Depth=2
	v_add_nc_u32_e32 v32, v36, v34
	ds_read_b128 v[26:29], v32
	s_waitcnt lgkmcnt(0)
	v_add_co_u32 v30, s30, v28, v26
	v_add_co_ci_u32_e64 v31, null, v29, v27, s30
	ds_write_b128 v32, v[28:31]
.LBB0_83:                               ;   in Loop: Header=BB0_55 Depth=2
	s_or_b32 exec_lo, exec_lo, s33
	s_waitcnt lgkmcnt(0)
	s_barrier
	buffer_gl0_inv
	s_barrier
	buffer_gl0_inv
	ds_read_b64 v[31:32], v25 offset:17440
	s_waitcnt lgkmcnt(0)
	s_barrier
	buffer_gl0_inv
	ds_read_b64 v[26:27], v36
	s_waitcnt lgkmcnt(0)
	ds_write_b64 v125, v[26:27]
	s_and_saveexec_b32 s30, s29
	s_cbranch_execz .LBB0_54
; %bb.84:                               ;   in Loop: Header=BB0_55 Depth=2
	v_mov_b32_e32 v26, s31
	ds_write_b64 v26, v[31:32] offset:16384
	s_branch .LBB0_54
.LBB0_85:                               ;   in Loop: Header=BB0_53 Depth=1
	s_waitcnt lgkmcnt(0)
	s_barrier
	buffer_gl0_inv
	s_and_saveexec_b32 s30, s26
	s_cbranch_execz .LBB0_87
; %bb.86:                               ;   in Loop: Header=BB0_53 Depth=1
	ds_read_b32 v26, v52 offset:4096
	s_waitcnt lgkmcnt(0)
	v_lshrrev_b32_e32 v27, 16, v26
	v_add_nc_u16 v26, v27, v26
	ds_write_b16 v52, v26 offset:4098
.LBB0_87:                               ;   in Loop: Header=BB0_53 Depth=1
	s_or_b32 exec_lo, exec_lo, s30
	s_waitcnt lgkmcnt(0)
	s_barrier
	buffer_gl0_inv
	s_and_saveexec_b32 s30, s27
	s_cbranch_execz .LBB0_89
; %bb.88:                               ;   in Loop: Header=BB0_53 Depth=1
	ds_read_u16 v26, v47 offset:16382
	ds_read_u16 v27, v48 offset:16382
	s_waitcnt lgkmcnt(0)
	v_add_nc_u16 v26, v27, v26
	ds_write_b16 v48, v26 offset:16382
.LBB0_89:                               ;   in Loop: Header=BB0_53 Depth=1
	s_or_b32 exec_lo, exec_lo, s30
	s_waitcnt lgkmcnt(0)
	s_barrier
	buffer_gl0_inv
	s_and_saveexec_b32 s30, s28
	s_cbranch_execz .LBB0_91
; %bb.90:                               ;   in Loop: Header=BB0_53 Depth=1
	ds_read_u16 v26, v49 offset:16382
	ds_read_u16 v27, v50 offset:16382
	s_waitcnt lgkmcnt(0)
	v_add_nc_u16 v26, v27, v26
	ds_write_b16 v50, v26 offset:16382
.LBB0_91:                               ;   in Loop: Header=BB0_53 Depth=1
	s_or_b32 exec_lo, exec_lo, s30
	s_waitcnt lgkmcnt(0)
	s_barrier
	buffer_gl0_inv
	s_and_saveexec_b32 s30, s29
	s_cbranch_execz .LBB0_93
; %bb.92:                               ;   in Loop: Header=BB0_53 Depth=1
	ds_read_u16 v26, v25 offset:16398
	ds_read_u16 v27, v25 offset:16414
	s_waitcnt lgkmcnt(0)
	v_add_nc_u32_e32 v26, v27, v26
	ds_write_b16 v25, v26 offset:16414
.LBB0_93:                               ;   in Loop: Header=BB0_53 Depth=1
	s_or_b32 exec_lo, exec_lo, s30
	s_waitcnt lgkmcnt(0)
	s_barrier
	buffer_gl0_inv
	s_barrier
	buffer_gl0_inv
	s_and_saveexec_b32 s30, s29
	s_cbranch_execz .LBB0_95
; %bb.94:                               ;   in Loop: Header=BB0_53 Depth=1
	ds_read_u16 v26, v25 offset:16414
	s_waitcnt lgkmcnt(0)
	ds_write_b16 v25, v26 offset:17448
	s_waitcnt lgkmcnt(0)
	buffer_gl0_inv
	ds_write_b16 v25, v25 offset:16414
	s_waitcnt lgkmcnt(0)
	buffer_gl0_inv
	ds_read_u16 v26, v25 offset:16398
	ds_read_u16 v27, v25 offset:16414
	s_waitcnt lgkmcnt(0)
	v_add_nc_u32_e32 v26, v27, v26
	ds_write_b16 v25, v27 offset:16398
	ds_write_b16 v25, v26 offset:16414
.LBB0_95:                               ;   in Loop: Header=BB0_53 Depth=1
	s_or_b32 exec_lo, exec_lo, s30
	s_waitcnt lgkmcnt(0)
	s_barrier
	buffer_gl0_inv
	s_and_saveexec_b32 s30, s28
	s_cbranch_execz .LBB0_97
; %bb.96:                               ;   in Loop: Header=BB0_53 Depth=1
	ds_read_u16 v26, v49 offset:16382
	ds_read_u16 v27, v50 offset:16382
	s_waitcnt lgkmcnt(0)
	v_add_nc_u16 v26, v27, v26
	ds_write_b16 v49, v27 offset:16382
	ds_write_b16 v50, v26 offset:16382
.LBB0_97:                               ;   in Loop: Header=BB0_53 Depth=1
	s_or_b32 exec_lo, exec_lo, s30
	s_waitcnt lgkmcnt(0)
	s_barrier
	buffer_gl0_inv
	s_and_saveexec_b32 s30, s27
	s_cbranch_execz .LBB0_99
; %bb.98:                               ;   in Loop: Header=BB0_53 Depth=1
	ds_read_u16 v26, v47 offset:16382
	ds_read_u16 v27, v48 offset:16382
	s_waitcnt lgkmcnt(0)
	v_add_nc_u16 v26, v27, v26
	ds_write_b16 v47, v27 offset:16382
	ds_write_b16 v48, v26 offset:16382
.LBB0_99:                               ;   in Loop: Header=BB0_53 Depth=1
	s_or_b32 exec_lo, exec_lo, s30
	s_waitcnt lgkmcnt(0)
	s_barrier
	buffer_gl0_inv
	s_and_saveexec_b32 s30, s26
	s_cbranch_execz .LBB0_101
; %bb.100:                              ;   in Loop: Header=BB0_53 Depth=1
	ds_read_b32 v26, v52 offset:4096
	s_waitcnt lgkmcnt(0)
	v_lshrrev_b32_e32 v27, 16, v26
	v_add_nc_u16 v27, v27, v26
	v_alignbit_b32 v26, v27, v26, 16
	ds_write_b32 v52, v26 offset:4096
.LBB0_101:                              ;   in Loop: Header=BB0_53 Depth=1
	s_or_b32 exec_lo, exec_lo, s30
	s_waitcnt lgkmcnt(0)
	s_barrier
	buffer_gl0_inv
	s_barrier
	buffer_gl0_inv
	;; [unrolled: 2-line block ×3, first 2 shown]
	ds_read_u16 v26, v56
	v_lshl_or_b32 v27, v55, 3, v61
	v_lshl_or_b32 v29, v57, 3, v64
	;; [unrolled: 1-line block ×5, first 2 shown]
	ds_read_u16 v27, v27 offset:16384
	v_lshl_or_b32 v61, v69, 3, v79
	v_lshl_or_b32 v63, v72, 3, v81
	;; [unrolled: 1-line block ×10, first 2 shown]
	s_add_i32 s30, s41, 4
	s_mov_b32 s34, 0
	s_waitcnt lgkmcnt(1)
	v_add_nc_u16 v28, v26, 1
	v_lshlrev_b32_sdwa v26, v53, v26 dst_sel:DWORD dst_unused:UNUSED_PAD src0_sel:DWORD src1_sel:WORD_0
	s_mov_b32 s36, s34
	s_mov_b32 s35, s34
	;; [unrolled: 1-line block ×3, first 2 shown]
	ds_write_b16 v56, v28
	ds_read_u16 v28, v59
	ds_read_u16 v29, v29 offset:16384
	s_waitcnt lgkmcnt(3)
	v_lshl_add_u32 v26, v27, 2, v26
	ds_write_b32 v26, v1
	s_waitcnt lgkmcnt(2)
	v_add_nc_u16 v30, v28, 1
	v_lshlrev_b32_sdwa v28, v53, v28 dst_sel:DWORD dst_unused:UNUSED_PAD src0_sel:DWORD src1_sel:WORD_0
	ds_write_b16 v59, v30
	ds_read_u16 v30, v62
	ds_read_u16 v31, v31 offset:16384
	v_lshl_or_b32 v59, v66, 3, v76
	s_waitcnt lgkmcnt(4)
	v_lshl_add_u32 v28, v29, 2, v28
	ds_write_b32 v28, v2
	s_waitcnt lgkmcnt(2)
	v_add_nc_u16 v32, v30, 1
	v_lshlrev_b32_sdwa v1, v53, v30 dst_sel:DWORD dst_unused:UNUSED_PAD src0_sel:DWORD src1_sel:WORD_0
	ds_write_b16 v62, v32
	ds_read_u16 v32, v65
	ds_read_u16 v55, v55 offset:16384
	s_waitcnt lgkmcnt(4)
	v_lshl_add_u32 v1, v31, 2, v1
	s_waitcnt lgkmcnt(1)
	v_add_nc_u16 v56, v32, 1
	v_lshlrev_b32_sdwa v26, v53, v32 dst_sel:DWORD dst_unused:UNUSED_PAD src0_sel:DWORD src1_sel:WORD_0
	ds_write_b16 v65, v56
	ds_read_u16 v56, v68
	ds_read_u16 v57, v57 offset:16384
	v_lshl_or_b32 v65, v75, 3, v83
	v_lshl_or_b32 v75, v95, 3, v97
	;; [unrolled: 1-line block ×3, first 2 shown]
	s_waitcnt lgkmcnt(3)
	v_lshl_add_u32 v26, v55, 2, v26
	s_waitcnt lgkmcnt(1)
	v_add_nc_u16 v58, v56, 1
	v_lshlrev_b32_sdwa v30, v53, v56 dst_sel:DWORD dst_unused:UNUSED_PAD src0_sel:DWORD src1_sel:WORD_0
	ds_write_b16 v68, v58
	ds_read_u16 v58, v71
	ds_read_u16 v59, v59 offset:16384
	s_waitcnt lgkmcnt(3)
	v_lshl_add_u32 v30, v57, 2, v30
	s_waitcnt lgkmcnt(1)
	v_add_nc_u16 v60, v58, 1
	v_lshlrev_b32_sdwa v29, v53, v58 dst_sel:DWORD dst_unused:UNUSED_PAD src0_sel:DWORD src1_sel:WORD_0
	ds_write_b16 v71, v60
	ds_read_u16 v60, v74
	ds_read_u16 v61, v61 offset:16384
	v_lshl_or_b32 v71, v89, 3, v91
	s_waitcnt lgkmcnt(3)
	v_lshl_add_u32 v2, v59, 2, v29
	s_waitcnt lgkmcnt(1)
	v_add_nc_u16 v62, v60, 1
	ds_write_b16 v74, v62
	ds_read_u16 v62, v77
	ds_read_u16 v63, v63 offset:16384
	s_waitcnt lgkmcnt(1)
	v_add_nc_u16 v64, v62, 1
	ds_write_b16 v77, v64
	ds_read_u16 v64, v80
	ds_read_u16 v65, v65 offset:16384
	v_lshl_or_b32 v77, v98, 3, v100
	s_waitcnt lgkmcnt(1)
	v_add_nc_u16 v66, v64, 1
	ds_write_b16 v80, v66
	ds_read_u16 v66, v82
	ds_read_u16 v67, v67 offset:16384
	s_waitcnt lgkmcnt(1)
	v_add_nc_u16 v68, v66, 1
	ds_write_b16 v82, v68
	ds_read_u16 v68, v87
	ds_read_u16 v69, v69 offset:16384
	;; [unrolled: 5-line block ×4, first 2 shown]
	v_lshl_or_b32 v90, v117, 3, v118
	s_waitcnt lgkmcnt(1)
	v_add_nc_u16 v74, v72, 1
	ds_write_b16 v93, v74
	ds_read_u16 v74, v96
	ds_read_u16 v75, v75 offset:16384
	v_lshl_or_b32 v93, v123, 3, v124
	s_waitcnt lgkmcnt(1)
	v_add_nc_u16 v76, v74, 1
	ds_write_b16 v96, v76
	ds_read_u16 v76, v99
	ds_read_u16 v77, v77 offset:16384
	s_waitcnt lgkmcnt(1)
	v_add_nc_u16 v78, v76, 1
	ds_write_b16 v99, v78
	ds_read_u16 v78, v102
	ds_read_u16 v79, v79 offset:16384
	;; [unrolled: 5-line block ×8, first 2 shown]
	ds_write_b32 v1, v3
	ds_write_b32 v26, v4
	;; [unrolled: 1-line block ×3, first 2 shown]
	v_lshl_or_b32 v92, v120, 3, v122
	ds_write_b32 v2, v6
	v_lshlrev_b32_sdwa v2, v53, v60 dst_sel:DWORD dst_unused:UNUSED_PAD src0_sel:DWORD src1_sel:WORD_0
	v_lshlrev_b32_sdwa v3, v53, v62 dst_sel:DWORD dst_unused:UNUSED_PAD src0_sel:DWORD src1_sel:WORD_0
	;; [unrolled: 1-line block ×5, first 2 shown]
	v_lshl_add_u32 v2, v61, 2, v2
	v_lshl_add_u32 v3, v63, 2, v3
	;; [unrolled: 1-line block ×3, first 2 shown]
	s_waitcnt lgkmcnt(5)
	v_add_nc_u16 v1, v91, 1
	ds_write_b16 v85, v1
	ds_read_u16 v1, v92 offset:16384
	ds_read_u16 v5, v54
	ds_write_b32 v2, v7
	ds_write_b32 v3, v8
	;; [unrolled: 1-line block ×3, first 2 shown]
	v_lshl_add_u32 v2, v67, 2, v6
	v_lshlrev_b32_sdwa v4, v53, v70 dst_sel:DWORD dst_unused:UNUSED_PAD src0_sel:DWORD src1_sel:WORD_0
	v_lshlrev_b32_sdwa v7, v53, v74 dst_sel:DWORD dst_unused:UNUSED_PAD src0_sel:DWORD src1_sel:WORD_0
	v_lshl_add_u32 v3, v69, 2, v26
	v_lshlrev_b32_sdwa v6, v53, v72 dst_sel:DWORD dst_unused:UNUSED_PAD src0_sel:DWORD src1_sel:WORD_0
	ds_write_b32 v2, v10
	ds_write_b32 v3, v11
	v_lshl_add_u32 v2, v71, 2, v4
	v_lshl_add_u32 v4, v75, 2, v7
	v_lshl_add_u32 v3, v73, 2, v6
	v_lshlrev_b32_sdwa v6, v53, v76 dst_sel:DWORD dst_unused:UNUSED_PAD src0_sel:DWORD src1_sel:WORD_0
	ds_write_b32 v2, v12
	ds_write_b32 v3, v13
	;; [unrolled: 1-line block ×3, first 2 shown]
	v_lshlrev_b32_sdwa v8, v53, v82 dst_sel:DWORD dst_unused:UNUSED_PAD src0_sel:DWORD src1_sel:WORD_0
	v_lshl_add_u32 v2, v77, 2, v6
	v_lshlrev_b32_sdwa v6, v53, v78 dst_sel:DWORD dst_unused:UNUSED_PAD src0_sel:DWORD src1_sel:WORD_0
	s_waitcnt lgkmcnt(8)
	v_add_nc_u16 v7, v5, 1
	v_lshlrev_b32_sdwa v9, v53, v87 dst_sel:DWORD dst_unused:UNUSED_PAD src0_sel:DWORD src1_sel:WORD_0
	v_lshl_add_u32 v8, v83, 2, v8
	v_lshlrev_b32_sdwa v5, v53, v5 dst_sel:DWORD dst_unused:UNUSED_PAD src0_sel:DWORD src1_sel:WORD_0
	v_lshl_add_u32 v6, v79, 2, v6
	ds_write_b16 v54, v7
	ds_read_u16 v3, v93 offset:16384
	ds_read_u16 v4, v0
	v_lshlrev_b32_sdwa v7, v53, v80 dst_sel:DWORD dst_unused:UNUSED_PAD src0_sel:DWORD src1_sel:WORD_0
	ds_write_b32 v2, v15
	v_lshlrev_b32_sdwa v2, v53, v84 dst_sel:DWORD dst_unused:UNUSED_PAD src0_sel:DWORD src1_sel:WORD_0
	v_lshl_add_u32 v1, v1, 2, v5
	v_mov_b32_e32 v10, s36
	v_lshl_add_u32 v7, v81, 2, v7
	ds_write_b32 v6, v16
	ds_write_b32 v7, v17
	;; [unrolled: 1-line block ×3, first 2 shown]
	v_lshl_add_u32 v2, v86, 2, v2
	v_lshl_add_u32 v6, v88, 2, v9
	v_lshlrev_b32_sdwa v7, v53, v91 dst_sel:DWORD dst_unused:UNUSED_PAD src0_sel:DWORD src1_sel:WORD_0
	v_mov_b32_e32 v11, s37
	ds_write_b32 v2, v19
	v_lshlrev_b32_sdwa v2, v53, v89 dst_sel:DWORD dst_unused:UNUSED_PAD src0_sel:DWORD src1_sel:WORD_0
	ds_write_b32 v6, v20
	v_lshl_add_u32 v7, v27, 2, v7
	s_waitcnt lgkmcnt(6)
	v_lshlrev_b32_sdwa v6, v53, v4 dst_sel:DWORD dst_unused:UNUSED_PAD src0_sel:DWORD src1_sel:WORD_0
	v_add_nc_u16 v4, v4, 1
	v_lshl_add_u32 v2, v90, 2, v2
	v_lshl_add_u32 v3, v3, 2, v6
	ds_write_b32 v2, v21
	ds_write_b32 v7, v22
	;; [unrolled: 1-line block ×3, first 2 shown]
	ds_write_b16 v0, v4
	ds_write_b32 v3, v24
	s_waitcnt lgkmcnt(0)
	s_barrier
	buffer_gl0_inv
	ds_read_b128 v[4:7], v51
	ds_read_b128 v[0:3], v51 offset:16
	s_waitcnt lgkmcnt(1)
	v_ashrrev_i32_e32 v8, s30, v4
	v_bfe_u32 v56, v8, 2, 2
	v_and_b32_e32 v8, 3, v8
	v_lshlrev_b32_e32 v12, 3, v56
	v_lshlrev_b32_e32 v57, 1, v8
	v_mov_b32_e32 v8, s34
	v_mov_b32_e32 v9, s35
	ds_write2_b64 v35, v[8:9], v[10:11] offset1:1
	ds_write2_b64 v35, v[8:9], v[10:11] offset0:2 offset1:3
	v_add3_u32 v58, v35, v12, v57
	v_ashrrev_i32_e32 v9, s30, v5
	ds_read_b128 v[12:15], v51 offset:32
	ds_read_u16 v8, v58
	v_bfe_u32 v59, v9, 2, 2
	v_and_b32_e32 v9, 3, v9
	v_lshlrev_b32_e32 v10, 3, v59
	v_lshlrev_b32_e32 v65, 1, v9
	v_ashrrev_i32_e32 v9, s30, v6
	v_add3_u32 v61, v35, v10, v65
	v_bfe_u32 v60, v9, 2, 2
	v_and_b32_e32 v9, 3, v9
	s_waitcnt lgkmcnt(1)
	v_ashrrev_i32_e32 v17, s30, v12
	v_lshlrev_b32_e32 v10, 3, v60
	v_lshlrev_b32_e32 v68, 1, v9
	s_waitcnt lgkmcnt(0)
	v_add_nc_u16 v8, v8, 1
	v_ashrrev_i32_e32 v9, s30, v7
	v_bfe_u32 v79, v17, 2, 2
	v_and_b32_e32 v17, 3, v17
	v_add3_u32 v63, v35, v10, v68
	ds_write_b16 v58, v8
	ds_read_u16 v8, v61
	v_bfe_u32 v62, v9, 2, 2
	v_and_b32_e32 v9, 3, v9
	v_lshlrev_b32_e32 v18, 3, v79
	v_lshlrev_b32_e32 v86, 1, v17
	v_ashrrev_i32_e32 v17, s30, v13
	v_lshlrev_b32_e32 v10, 3, v62
	v_lshlrev_b32_e32 v71, 1, v9
	v_ashrrev_i32_e32 v9, s30, v0
	v_add3_u32 v82, v35, v18, v86
	v_bfe_u32 v80, v17, 2, 2
	v_and_b32_e32 v17, 3, v17
	v_add3_u32 v66, v35, v10, v71
	v_bfe_u32 v64, v9, 2, 2
	v_and_b32_e32 v9, 3, v9
	v_lshlrev_b32_e32 v18, 3, v80
	v_lshlrev_b32_e32 v89, 1, v17
	v_ashrrev_i32_e32 v17, s30, v14
	v_lshlrev_b32_e32 v10, 3, v64
	v_lshlrev_b32_e32 v73, 1, v9
	s_waitcnt lgkmcnt(0)
	v_add_nc_u16 v8, v8, 1
	v_ashrrev_i32_e32 v9, s30, v1
	v_add3_u32 v84, v35, v18, v89
	v_bfe_u32 v83, v17, 2, 2
	v_add3_u32 v69, v35, v10, v73
	ds_write_b16 v61, v8
	ds_read_u16 v8, v63
	v_bfe_u32 v67, v9, 2, 2
	v_and_b32_e32 v9, 3, v9
	v_and_b32_e32 v17, 3, v17
	v_lshlrev_b32_e32 v18, 3, v83
	v_lshlrev_b32_e32 v10, 3, v67
	;; [unrolled: 1-line block ×3, first 2 shown]
	v_ashrrev_i32_e32 v9, s30, v2
	v_lshlrev_b32_e32 v92, 1, v17
	v_ashrrev_i32_e32 v17, s30, v15
	v_add3_u32 v72, v35, v10, v76
	v_bfe_u32 v70, v9, 2, 2
	v_and_b32_e32 v9, 3, v9
	v_add3_u32 v87, v35, v18, v92
	v_bfe_u32 v85, v17, 2, 2
	v_and_b32_e32 v17, 3, v17
	v_lshlrev_b32_e32 v10, 3, v70
	v_lshlrev_b32_e32 v77, 1, v9
	s_waitcnt lgkmcnt(0)
	v_add_nc_u16 v8, v8, 1
	v_ashrrev_i32_e32 v9, s30, v3
	v_lshlrev_b32_e32 v18, 3, v85
	v_lshlrev_b32_e32 v95, 1, v17
	v_add3_u32 v74, v35, v10, v77
	ds_write_b16 v63, v8
	ds_read_u16 v8, v66
	v_bfe_u32 v75, v9, 2, 2
	v_and_b32_e32 v9, 3, v9
	v_add3_u32 v90, v35, v18, v95
	v_lshlrev_b32_e32 v10, 3, v75
	v_lshlrev_b32_e32 v81, 1, v9
	v_add3_u32 v78, v35, v10, v81
	s_waitcnt lgkmcnt(0)
	v_add_nc_u16 v8, v8, 1
	ds_write_b16 v66, v8
	ds_read_u16 v8, v69
	s_waitcnt lgkmcnt(0)
	v_add_nc_u16 v8, v8, 1
	ds_write_b16 v69, v8
	ds_read_u16 v8, v72
	;; [unrolled: 4-line block ×4, first 2 shown]
	ds_read_b128 v[8:11], v51 offset:48
	ds_read_b128 v[20:23], v51 offset:64
	s_waitcnt lgkmcnt(2)
	v_add_nc_u16 v16, v16, 1
	s_waitcnt lgkmcnt(1)
	v_ashrrev_i32_e32 v17, s30, v8
	s_waitcnt lgkmcnt(0)
	v_ashrrev_i32_e32 v26, s30, v20
	ds_write_b16 v78, v16
	ds_read_u16 v16, v82
	v_bfe_u32 v88, v17, 2, 2
	v_and_b32_e32 v17, 3, v17
	v_bfe_u32 v103, v26, 2, 2
	v_and_b32_e32 v26, 3, v26
	v_lshlrev_b32_e32 v18, 3, v88
	v_lshlrev_b32_e32 v97, 1, v17
	v_ashrrev_i32_e32 v17, s30, v9
	v_lshlrev_b32_e32 v27, 3, v103
	v_lshlrev_b32_e32 v111, 1, v26
	v_ashrrev_i32_e32 v26, s30, v21
	v_add3_u32 v93, v35, v18, v97
	v_bfe_u32 v91, v17, 2, 2
	v_and_b32_e32 v17, 3, v17
	v_add3_u32 v107, v35, v27, v111
	v_bfe_u32 v105, v26, 2, 2
	v_and_b32_e32 v26, 3, v26
	v_lshlrev_b32_e32 v18, 3, v91
	v_lshlrev_b32_e32 v100, 1, v17
	s_waitcnt lgkmcnt(0)
	v_add_nc_u16 v16, v16, 1
	v_ashrrev_i32_e32 v17, s30, v10
	v_lshlrev_b32_e32 v27, 3, v105
	v_lshlrev_b32_e32 v114, 1, v26
	v_add3_u32 v96, v35, v18, v100
	ds_write_b16 v82, v16
	ds_read_u16 v16, v84
	v_bfe_u32 v94, v17, 2, 2
	v_and_b32_e32 v17, 3, v17
	v_add3_u32 v109, v35, v27, v114
	v_ashrrev_i32_e32 v26, s30, v22
	v_lshlrev_b32_e32 v18, 3, v94
	v_lshlrev_b32_e32 v101, 1, v17
	v_ashrrev_i32_e32 v17, s30, v11
	v_bfe_u32 v108, v26, 2, 2
	v_and_b32_e32 v26, 3, v26
	v_add3_u32 v98, v35, v18, v101
	v_bfe_u32 v99, v17, 2, 2
	v_and_b32_e32 v17, 3, v17
	v_lshlrev_b32_e32 v27, 3, v108
	v_lshlrev_b32_e32 v116, 1, v26
	v_ashrrev_i32_e32 v26, s30, v23
	v_lshlrev_b32_e32 v18, 3, v99
	v_lshlrev_b32_e32 v106, 1, v17
	s_waitcnt lgkmcnt(0)
	v_add_nc_u16 v16, v16, 1
	v_add3_u32 v112, v35, v27, v116
	v_bfe_u32 v110, v26, 2, 2
	v_and_b32_e32 v26, 3, v26
	v_add3_u32 v102, v35, v18, v106
	ds_write_b16 v84, v16
	ds_read_u16 v16, v87
	v_lshlrev_b32_e32 v27, 3, v110
	v_lshlrev_b32_e32 v117, 1, v26
	v_add3_u32 v115, v35, v27, v117
	s_waitcnt lgkmcnt(0)
	v_add_nc_u16 v16, v16, 1
	ds_write_b16 v87, v16
	ds_read_u16 v16, v90
	s_waitcnt lgkmcnt(0)
	v_add_nc_u16 v16, v16, 1
	ds_write_b16 v90, v16
	ds_read_u16 v16, v93
	;; [unrolled: 4-line block ×5, first 2 shown]
	ds_read_b128 v[16:19], v51 offset:80
	s_waitcnt lgkmcnt(1)
	v_add_nc_u16 v24, v24, 1
	s_waitcnt lgkmcnt(0)
	v_ashrrev_i32_e32 v26, s30, v16
	ds_write_b16 v102, v24
	ds_read_u16 v24, v107
	v_bfe_u32 v113, v26, 2, 2
	v_and_b32_e32 v26, 3, v26
	v_lshlrev_b32_e32 v27, 3, v113
	v_lshlrev_b32_e32 v119, 1, v26
	v_ashrrev_i32_e32 v26, s30, v17
	v_add3_u32 v104, v35, v27, v119
	v_bfe_u32 v120, v26, 2, 2
	v_and_b32_e32 v26, 3, v26
	v_lshlrev_b32_e32 v27, 3, v120
	v_lshlrev_b32_e32 v123, 1, v26
	s_waitcnt lgkmcnt(0)
	v_add_nc_u16 v24, v24, 1
	v_ashrrev_i32_e32 v26, s30, v18
	v_add3_u32 v55, v35, v27, v123
	ds_write_b16 v107, v24
	ds_read_u16 v24, v109
	v_bfe_u32 v118, v26, 2, 2
	v_and_b32_e32 v26, 3, v26
	v_lshlrev_b32_e32 v27, 3, v118
	v_lshlrev_b32_e32 v122, 1, v26
	v_ashrrev_i32_e32 v26, s30, v19
	v_add3_u32 v54, v35, v27, v122
	v_bfe_u32 v121, v26, 2, 2
	v_and_b32_e32 v26, 3, v26
	v_lshlrev_b32_e32 v27, 3, v121
	v_lshlrev_b32_e32 v124, 1, v26
	s_waitcnt lgkmcnt(0)
	v_add_nc_u16 v24, v24, 1
	ds_write_b16 v109, v24
	ds_read_u16 v24, v112
	s_waitcnt lgkmcnt(0)
	v_add_nc_u16 v24, v24, 1
	ds_write_b16 v112, v24
	ds_read_u16 v24, v115
	;; [unrolled: 4-line block ×5, first 2 shown]
	s_waitcnt lgkmcnt(0)
	v_add_nc_u16 v26, v24, 1
	v_add3_u32 v24, v35, v27, v124
	ds_write_b16 v54, v26
	ds_read_u16 v26, v24
	s_waitcnt lgkmcnt(0)
	v_add_nc_u16 v26, v26, 1
	ds_write_b16 v24, v26
	s_waitcnt lgkmcnt(0)
	s_barrier
	buffer_gl0_inv
	s_branch .LBB0_103
.LBB0_102:                              ;   in Loop: Header=BB0_103 Depth=2
	s_or_b32 exec_lo, exec_lo, s30
	s_add_i32 s34, s34, 8
	s_cmp_eq_u32 s34, 32
	s_cbranch_scc1 .LBB0_133
.LBB0_103:                              ;   Parent Loop BB0_53 Depth=1
                                        ; =>  This Inner Loop Header: Depth=2
	v_add_nc_u32_e32 v125, s34, v35
	ds_read_b64 v[26:27], v125
	s_waitcnt lgkmcnt(0)
	ds_write_b64 v36, v[26:27]
	s_waitcnt lgkmcnt(0)
	s_barrier
	buffer_gl0_inv
	s_and_saveexec_b32 s31, s23
	s_cbranch_execz .LBB0_105
; %bb.104:                              ;   in Loop: Header=BB0_103 Depth=2
	v_add_nc_u32_e32 v30, v36, v34
	ds_read_b128 v[26:29], v30
	s_waitcnt lgkmcnt(0)
	v_add_co_u32 v26, s30, v28, v26
	v_add_co_ci_u32_e64 v27, null, v29, v27, s30
	ds_write_b64 v30, v[26:27] offset:8
.LBB0_105:                              ;   in Loop: Header=BB0_103 Depth=2
	s_or_b32 exec_lo, exec_lo, s31
	s_waitcnt lgkmcnt(0)
	s_barrier
	buffer_gl0_inv
	s_and_saveexec_b32 s31, s24
	s_cbranch_execz .LBB0_107
; %bb.106:                              ;   in Loop: Header=BB0_103 Depth=2
	ds_read_b64 v[26:27], v38 offset:16408
	ds_read_b64 v[28:29], v37 offset:16408
	s_waitcnt lgkmcnt(0)
	v_add_co_u32 v26, s30, v28, v26
	v_add_co_ci_u32_e64 v27, null, v29, v27, s30
	ds_write_b64 v37, v[26:27] offset:16408
.LBB0_107:                              ;   in Loop: Header=BB0_103 Depth=2
	s_or_b32 exec_lo, exec_lo, s31
	s_waitcnt lgkmcnt(0)
	s_barrier
	buffer_gl0_inv
	s_and_saveexec_b32 s31, s25
	s_cbranch_execz .LBB0_109
; %bb.108:                              ;   in Loop: Header=BB0_103 Depth=2
	ds_read_b64 v[26:27], v40 offset:16408
	ds_read_b64 v[28:29], v39 offset:16408
	s_waitcnt lgkmcnt(0)
	v_add_co_u32 v26, s30, v28, v26
	v_add_co_ci_u32_e64 v27, null, v29, v27, s30
	ds_write_b64 v39, v[26:27] offset:16408
.LBB0_109:                              ;   in Loop: Header=BB0_103 Depth=2
	;; [unrolled: 14-line block ×5, first 2 shown]
	s_or_b32 exec_lo, exec_lo, s31
	s_waitcnt lgkmcnt(0)
	s_barrier
	buffer_gl0_inv
	s_and_saveexec_b32 s31, s29
	s_cbranch_execz .LBB0_117
; %bb.116:                              ;   in Loop: Header=BB0_103 Depth=2
	v_add_nc_u32_e64 v26, 24, 0
	ds_read2st64_b64 v[26:29], v26 offset0:33 offset1:34
	s_waitcnt lgkmcnt(0)
	v_add_co_u32 v26, s30, v28, v26
	v_add_co_ci_u32_e64 v27, null, v29, v27, s30
	ds_write_b64 v25, v[26:27] offset:17432
.LBB0_117:                              ;   in Loop: Header=BB0_103 Depth=2
	s_or_b32 exec_lo, exec_lo, s31
	s_waitcnt lgkmcnt(0)
	s_barrier
	buffer_gl0_inv
	s_barrier
	buffer_gl0_inv
	s_and_saveexec_b32 s31, s29
	s_cbranch_execz .LBB0_119
; %bb.118:                              ;   in Loop: Header=BB0_103 Depth=2
	ds_read_b64 v[27:28], v25 offset:17432
	v_mov_b32_e32 v26, v25
	v_add_nc_u32_e64 v30, 24, 0
	s_waitcnt lgkmcnt(0)
	ds_write_b64 v25, v[27:28] offset:17440
	s_waitcnt lgkmcnt(0)
	buffer_gl0_inv
	ds_write_b64 v25, v[25:26] offset:17432
	s_waitcnt lgkmcnt(0)
	buffer_gl0_inv
	ds_read2st64_b64 v[26:29], v30 offset0:33 offset1:34
	s_waitcnt lgkmcnt(0)
	v_add_co_u32 v26, s30, v28, v26
	v_add_co_ci_u32_e64 v27, null, v29, v27, s30
	ds_write2st64_b64 v30, v[28:29], v[26:27] offset0:33 offset1:34
.LBB0_119:                              ;   in Loop: Header=BB0_103 Depth=2
	s_or_b32 exec_lo, exec_lo, s31
	s_waitcnt lgkmcnt(0)
	s_barrier
	buffer_gl0_inv
	s_and_saveexec_b32 s31, s28
	s_cbranch_execz .LBB0_121
; %bb.120:                              ;   in Loop: Header=BB0_103 Depth=2
	ds_read_b64 v[26:27], v46 offset:16408
	ds_read_b64 v[28:29], v45 offset:16408
	s_waitcnt lgkmcnt(0)
	v_add_co_u32 v26, s30, v28, v26
	v_add_co_ci_u32_e64 v27, null, v29, v27, s30
	ds_write_b64 v46, v[28:29] offset:16408
	ds_write_b64 v45, v[26:27] offset:16408
.LBB0_121:                              ;   in Loop: Header=BB0_103 Depth=2
	s_or_b32 exec_lo, exec_lo, s31
	s_waitcnt lgkmcnt(0)
	s_barrier
	buffer_gl0_inv
	s_and_saveexec_b32 s31, s27
	s_cbranch_execz .LBB0_123
; %bb.122:                              ;   in Loop: Header=BB0_103 Depth=2
	ds_read_b64 v[26:27], v44 offset:16408
	ds_read_b64 v[28:29], v43 offset:16408
	s_waitcnt lgkmcnt(0)
	v_add_co_u32 v26, s30, v28, v26
	v_add_co_ci_u32_e64 v27, null, v29, v27, s30
	ds_write_b64 v44, v[28:29] offset:16408
	ds_write_b64 v43, v[26:27] offset:16408
.LBB0_123:                              ;   in Loop: Header=BB0_103 Depth=2
	;; [unrolled: 15-line block ×5, first 2 shown]
	s_or_b32 exec_lo, exec_lo, s31
	s_waitcnt lgkmcnt(0)
	s_barrier
	buffer_gl0_inv
	s_and_saveexec_b32 s31, s23
	s_cbranch_execz .LBB0_131
; %bb.130:                              ;   in Loop: Header=BB0_103 Depth=2
	v_add_nc_u32_e32 v32, v36, v34
	ds_read_b128 v[26:29], v32
	s_waitcnt lgkmcnt(0)
	v_add_co_u32 v30, s30, v28, v26
	v_add_co_ci_u32_e64 v31, null, v29, v27, s30
	ds_write_b128 v32, v[28:31]
.LBB0_131:                              ;   in Loop: Header=BB0_103 Depth=2
	s_or_b32 exec_lo, exec_lo, s31
	s_waitcnt lgkmcnt(0)
	s_barrier
	buffer_gl0_inv
	s_barrier
	buffer_gl0_inv
	ds_read_b64 v[31:32], v25 offset:17440
	s_waitcnt lgkmcnt(0)
	s_barrier
	buffer_gl0_inv
	ds_read_b64 v[26:27], v36
	s_waitcnt lgkmcnt(0)
	ds_write_b64 v125, v[26:27]
	s_and_saveexec_b32 s30, s29
	s_cbranch_execz .LBB0_102
; %bb.132:                              ;   in Loop: Header=BB0_103 Depth=2
	v_mov_b32_e32 v26, s34
	ds_write_b64 v26, v[31:32] offset:16384
	s_branch .LBB0_102
.LBB0_133:                              ;   in Loop: Header=BB0_53 Depth=1
	s_waitcnt lgkmcnt(0)
	s_barrier
	buffer_gl0_inv
	s_and_saveexec_b32 s30, s26
	s_cbranch_execz .LBB0_135
; %bb.134:                              ;   in Loop: Header=BB0_53 Depth=1
	ds_read_b32 v26, v52 offset:4096
	s_waitcnt lgkmcnt(0)
	v_lshrrev_b32_e32 v27, 16, v26
	v_add_nc_u16 v26, v27, v26
	ds_write_b16 v52, v26 offset:4098
.LBB0_135:                              ;   in Loop: Header=BB0_53 Depth=1
	s_or_b32 exec_lo, exec_lo, s30
	s_waitcnt lgkmcnt(0)
	s_barrier
	buffer_gl0_inv
	s_and_saveexec_b32 s30, s27
	s_cbranch_execz .LBB0_137
; %bb.136:                              ;   in Loop: Header=BB0_53 Depth=1
	ds_read_u16 v26, v47 offset:16382
	ds_read_u16 v27, v48 offset:16382
	s_waitcnt lgkmcnt(0)
	v_add_nc_u16 v26, v27, v26
	ds_write_b16 v48, v26 offset:16382
.LBB0_137:                              ;   in Loop: Header=BB0_53 Depth=1
	s_or_b32 exec_lo, exec_lo, s30
	s_waitcnt lgkmcnt(0)
	s_barrier
	buffer_gl0_inv
	s_and_saveexec_b32 s30, s28
	s_cbranch_execz .LBB0_139
; %bb.138:                              ;   in Loop: Header=BB0_53 Depth=1
	ds_read_u16 v26, v49 offset:16382
	ds_read_u16 v27, v50 offset:16382
	s_waitcnt lgkmcnt(0)
	v_add_nc_u16 v26, v27, v26
	ds_write_b16 v50, v26 offset:16382
.LBB0_139:                              ;   in Loop: Header=BB0_53 Depth=1
	s_or_b32 exec_lo, exec_lo, s30
	s_waitcnt lgkmcnt(0)
	s_barrier
	buffer_gl0_inv
	s_and_saveexec_b32 s30, s29
	s_cbranch_execz .LBB0_141
; %bb.140:                              ;   in Loop: Header=BB0_53 Depth=1
	ds_read_u16 v26, v25 offset:16398
	ds_read_u16 v27, v25 offset:16414
	s_waitcnt lgkmcnt(0)
	v_add_nc_u32_e32 v26, v27, v26
	ds_write_b16 v25, v26 offset:16414
.LBB0_141:                              ;   in Loop: Header=BB0_53 Depth=1
	s_or_b32 exec_lo, exec_lo, s30
	s_waitcnt lgkmcnt(0)
	s_barrier
	buffer_gl0_inv
	s_barrier
	buffer_gl0_inv
	s_and_saveexec_b32 s30, s29
	s_cbranch_execz .LBB0_143
; %bb.142:                              ;   in Loop: Header=BB0_53 Depth=1
	ds_read_u16 v26, v25 offset:16414
	s_waitcnt lgkmcnt(0)
	ds_write_b16 v25, v26 offset:17448
	s_waitcnt lgkmcnt(0)
	buffer_gl0_inv
	ds_write_b16 v25, v25 offset:16414
	s_waitcnt lgkmcnt(0)
	buffer_gl0_inv
	ds_read_u16 v26, v25 offset:16398
	ds_read_u16 v27, v25 offset:16414
	s_waitcnt lgkmcnt(0)
	v_add_nc_u32_e32 v26, v27, v26
	ds_write_b16 v25, v27 offset:16398
	ds_write_b16 v25, v26 offset:16414
.LBB0_143:                              ;   in Loop: Header=BB0_53 Depth=1
	s_or_b32 exec_lo, exec_lo, s30
	s_waitcnt lgkmcnt(0)
	s_barrier
	buffer_gl0_inv
	s_and_saveexec_b32 s30, s28
	s_cbranch_execz .LBB0_145
; %bb.144:                              ;   in Loop: Header=BB0_53 Depth=1
	ds_read_u16 v26, v49 offset:16382
	ds_read_u16 v27, v50 offset:16382
	s_waitcnt lgkmcnt(0)
	v_add_nc_u16 v26, v27, v26
	ds_write_b16 v49, v27 offset:16382
	ds_write_b16 v50, v26 offset:16382
.LBB0_145:                              ;   in Loop: Header=BB0_53 Depth=1
	s_or_b32 exec_lo, exec_lo, s30
	s_waitcnt lgkmcnt(0)
	s_barrier
	buffer_gl0_inv
	s_and_saveexec_b32 s30, s27
	s_cbranch_execz .LBB0_147
; %bb.146:                              ;   in Loop: Header=BB0_53 Depth=1
	ds_read_u16 v26, v47 offset:16382
	ds_read_u16 v27, v48 offset:16382
	s_waitcnt lgkmcnt(0)
	v_add_nc_u16 v26, v27, v26
	ds_write_b16 v47, v27 offset:16382
	ds_write_b16 v48, v26 offset:16382
.LBB0_147:                              ;   in Loop: Header=BB0_53 Depth=1
	s_or_b32 exec_lo, exec_lo, s30
	s_waitcnt lgkmcnt(0)
	s_barrier
	buffer_gl0_inv
	s_and_saveexec_b32 s30, s26
	s_cbranch_execz .LBB0_52
; %bb.148:                              ;   in Loop: Header=BB0_53 Depth=1
	ds_read_b32 v26, v52 offset:4096
	s_waitcnt lgkmcnt(0)
	v_lshrrev_b32_e32 v27, 16, v26
	v_add_nc_u16 v27, v27, v26
	v_alignbit_b32 v26, v27, v26, 16
	ds_write_b32 v52, v26 offset:4096
	s_branch .LBB0_52
.LBB0_149:
	s_and_saveexec_b32 s23, vcc_lo
	s_cbranch_execnz .LBB0_173
; %bb.150:
	s_or_b32 exec_lo, exec_lo, s23
	s_and_saveexec_b32 s23, s0
	s_cbranch_execnz .LBB0_174
.LBB0_151:
	s_or_b32 exec_lo, exec_lo, s23
	s_and_saveexec_b32 s0, s1
	s_cbranch_execnz .LBB0_175
.LBB0_152:
	s_or_b32 exec_lo, exec_lo, s0
	s_and_saveexec_b32 s0, s2
	s_cbranch_execnz .LBB0_176
.LBB0_153:
	s_or_b32 exec_lo, exec_lo, s0
	s_and_saveexec_b32 s0, s3
	s_cbranch_execnz .LBB0_177
.LBB0_154:
	s_or_b32 exec_lo, exec_lo, s0
	s_and_saveexec_b32 s0, s4
	s_cbranch_execnz .LBB0_178
.LBB0_155:
	s_or_b32 exec_lo, exec_lo, s0
	s_and_saveexec_b32 s0, s5
	s_cbranch_execnz .LBB0_179
.LBB0_156:
	s_or_b32 exec_lo, exec_lo, s0
	s_and_saveexec_b32 s0, s6
	s_cbranch_execnz .LBB0_180
.LBB0_157:
	s_or_b32 exec_lo, exec_lo, s0
	s_and_saveexec_b32 s0, s7
	s_cbranch_execnz .LBB0_181
.LBB0_158:
	s_or_b32 exec_lo, exec_lo, s0
	s_and_saveexec_b32 s0, s8
	s_cbranch_execnz .LBB0_182
.LBB0_159:
	s_or_b32 exec_lo, exec_lo, s0
	s_and_saveexec_b32 s0, s9
	s_cbranch_execnz .LBB0_183
.LBB0_160:
	s_or_b32 exec_lo, exec_lo, s0
	s_and_saveexec_b32 s0, s10
	s_cbranch_execnz .LBB0_184
.LBB0_161:
	s_or_b32 exec_lo, exec_lo, s0
	s_and_saveexec_b32 s0, s11
	s_cbranch_execnz .LBB0_185
.LBB0_162:
	s_or_b32 exec_lo, exec_lo, s0
	s_and_saveexec_b32 s0, s12
	s_cbranch_execnz .LBB0_186
.LBB0_163:
	s_or_b32 exec_lo, exec_lo, s0
	s_and_saveexec_b32 s0, s13
	s_cbranch_execnz .LBB0_187
.LBB0_164:
	s_or_b32 exec_lo, exec_lo, s0
	s_and_saveexec_b32 s0, s14
	s_cbranch_execnz .LBB0_188
.LBB0_165:
	s_or_b32 exec_lo, exec_lo, s0
	s_and_saveexec_b32 s0, s15
	s_cbranch_execnz .LBB0_189
.LBB0_166:
	s_or_b32 exec_lo, exec_lo, s0
	s_and_saveexec_b32 s0, s16
	s_cbranch_execnz .LBB0_190
.LBB0_167:
	s_or_b32 exec_lo, exec_lo, s0
	s_and_saveexec_b32 s0, s17
	s_cbranch_execnz .LBB0_191
.LBB0_168:
	s_or_b32 exec_lo, exec_lo, s0
	s_and_saveexec_b32 s0, s18
	s_cbranch_execnz .LBB0_192
.LBB0_169:
	s_or_b32 exec_lo, exec_lo, s0
	s_and_saveexec_b32 s0, s19
	s_cbranch_execnz .LBB0_193
.LBB0_170:
	s_or_b32 exec_lo, exec_lo, s0
	s_and_saveexec_b32 s0, s20
	s_cbranch_execnz .LBB0_194
.LBB0_171:
	s_or_b32 exec_lo, exec_lo, s0
	s_and_saveexec_b32 s0, s21
	s_cbranch_execnz .LBB0_195
.LBB0_172:
	s_or_b32 exec_lo, exec_lo, s0
	s_and_saveexec_b32 s0, s22
	s_cbranch_execz .LBB0_1
	s_branch .LBB0_196
.LBB0_173:
	s_waitcnt lgkmcnt(5)
	global_store_dword v33, v1, s[38:39]
	s_or_b32 exec_lo, exec_lo, s23
	s_and_saveexec_b32 s23, s0
	s_cbranch_execz .LBB0_151
.LBB0_174:
	s_waitcnt lgkmcnt(5)
	global_store_dword v33, v2, s[38:39] offset:4
	s_or_b32 exec_lo, exec_lo, s23
	s_and_saveexec_b32 s0, s1
	s_cbranch_execz .LBB0_152
.LBB0_175:
	s_waitcnt lgkmcnt(5)
	global_store_dword v33, v3, s[38:39] offset:8
	s_or_b32 exec_lo, exec_lo, s0
	s_and_saveexec_b32 s0, s2
	s_cbranch_execz .LBB0_153
.LBB0_176:
	s_waitcnt lgkmcnt(5)
	global_store_dword v33, v4, s[38:39] offset:12
	s_or_b32 exec_lo, exec_lo, s0
	s_and_saveexec_b32 s0, s3
	s_cbranch_execz .LBB0_154
.LBB0_177:
	s_waitcnt lgkmcnt(4)
	global_store_dword v33, v5, s[38:39] offset:16
	s_or_b32 exec_lo, exec_lo, s0
	s_and_saveexec_b32 s0, s4
	s_cbranch_execz .LBB0_155
.LBB0_178:
	s_waitcnt lgkmcnt(4)
	global_store_dword v33, v6, s[38:39] offset:20
	s_or_b32 exec_lo, exec_lo, s0
	s_and_saveexec_b32 s0, s5
	s_cbranch_execz .LBB0_156
.LBB0_179:
	s_waitcnt lgkmcnt(4)
	global_store_dword v33, v7, s[38:39] offset:24
	s_or_b32 exec_lo, exec_lo, s0
	s_and_saveexec_b32 s0, s6
	s_cbranch_execz .LBB0_157
.LBB0_180:
	s_waitcnt lgkmcnt(4)
	global_store_dword v33, v8, s[38:39] offset:28
	s_or_b32 exec_lo, exec_lo, s0
	s_and_saveexec_b32 s0, s7
	s_cbranch_execz .LBB0_158
.LBB0_181:
	s_waitcnt lgkmcnt(3)
	global_store_dword v33, v9, s[38:39] offset:32
	s_or_b32 exec_lo, exec_lo, s0
	s_and_saveexec_b32 s0, s8
	s_cbranch_execz .LBB0_159
.LBB0_182:
	s_waitcnt lgkmcnt(3)
	global_store_dword v33, v10, s[38:39] offset:36
	s_or_b32 exec_lo, exec_lo, s0
	s_and_saveexec_b32 s0, s9
	s_cbranch_execz .LBB0_160
.LBB0_183:
	s_waitcnt lgkmcnt(3)
	global_store_dword v33, v11, s[38:39] offset:40
	s_or_b32 exec_lo, exec_lo, s0
	s_and_saveexec_b32 s0, s10
	s_cbranch_execz .LBB0_161
.LBB0_184:
	s_waitcnt lgkmcnt(3)
	global_store_dword v33, v12, s[38:39] offset:44
	s_or_b32 exec_lo, exec_lo, s0
	s_and_saveexec_b32 s0, s11
	s_cbranch_execz .LBB0_162
.LBB0_185:
	s_waitcnt lgkmcnt(2)
	global_store_dword v33, v13, s[38:39] offset:48
	s_or_b32 exec_lo, exec_lo, s0
	s_and_saveexec_b32 s0, s12
	s_cbranch_execz .LBB0_163
.LBB0_186:
	s_waitcnt lgkmcnt(2)
	global_store_dword v33, v14, s[38:39] offset:52
	s_or_b32 exec_lo, exec_lo, s0
	s_and_saveexec_b32 s0, s13
	s_cbranch_execz .LBB0_164
.LBB0_187:
	s_waitcnt lgkmcnt(2)
	global_store_dword v33, v15, s[38:39] offset:56
	s_or_b32 exec_lo, exec_lo, s0
	s_and_saveexec_b32 s0, s14
	s_cbranch_execz .LBB0_165
.LBB0_188:
	s_waitcnt lgkmcnt(2)
	global_store_dword v33, v16, s[38:39] offset:60
	s_or_b32 exec_lo, exec_lo, s0
	s_and_saveexec_b32 s0, s15
	s_cbranch_execz .LBB0_166
.LBB0_189:
	s_waitcnt lgkmcnt(1)
	global_store_dword v33, v17, s[38:39] offset:64
	s_or_b32 exec_lo, exec_lo, s0
	s_and_saveexec_b32 s0, s16
	s_cbranch_execz .LBB0_167
.LBB0_190:
	s_waitcnt lgkmcnt(1)
	global_store_dword v33, v18, s[38:39] offset:68
	s_or_b32 exec_lo, exec_lo, s0
	s_and_saveexec_b32 s0, s17
	s_cbranch_execz .LBB0_168
.LBB0_191:
	s_waitcnt lgkmcnt(1)
	global_store_dword v33, v19, s[38:39] offset:72
	s_or_b32 exec_lo, exec_lo, s0
	s_and_saveexec_b32 s0, s18
	s_cbranch_execz .LBB0_169
.LBB0_192:
	s_waitcnt lgkmcnt(1)
	global_store_dword v33, v20, s[38:39] offset:76
	s_or_b32 exec_lo, exec_lo, s0
	s_and_saveexec_b32 s0, s19
	s_cbranch_execz .LBB0_170
.LBB0_193:
	s_waitcnt lgkmcnt(0)
	global_store_dword v33, v21, s[38:39] offset:80
	s_or_b32 exec_lo, exec_lo, s0
	s_and_saveexec_b32 s0, s20
	s_cbranch_execz .LBB0_171
.LBB0_194:
	s_waitcnt lgkmcnt(0)
	global_store_dword v33, v22, s[38:39] offset:84
	s_or_b32 exec_lo, exec_lo, s0
	s_and_saveexec_b32 s0, s21
	s_cbranch_execz .LBB0_172
.LBB0_195:
	s_waitcnt lgkmcnt(0)
	global_store_dword v33, v23, s[38:39] offset:88
	s_or_b32 exec_lo, exec_lo, s0
	s_and_saveexec_b32 s0, s22
	s_cbranch_execz .LBB0_1
.LBB0_196:
	s_waitcnt lgkmcnt(0)
	global_store_dword v33, v24, s[38:39] offset:92
	s_endpgm
	.section	.rodata,"a",@progbits
	.p2align	6, 0x0
	.amdhsa_kernel SortSinglePassKernel
		.amdhsa_group_segment_fixed_size 17456
		.amdhsa_private_segment_fixed_size 12
		.amdhsa_kernarg_size 28
		.amdhsa_user_sgpr_count 6
		.amdhsa_user_sgpr_private_segment_buffer 1
		.amdhsa_user_sgpr_dispatch_ptr 0
		.amdhsa_user_sgpr_queue_ptr 0
		.amdhsa_user_sgpr_kernarg_segment_ptr 1
		.amdhsa_user_sgpr_dispatch_id 0
		.amdhsa_user_sgpr_flat_scratch_init 0
		.amdhsa_user_sgpr_private_segment_size 0
		.amdhsa_wavefront_size32 1
		.amdhsa_uses_dynamic_stack 0
		.amdhsa_system_sgpr_private_segment_wavefront_offset 1
		.amdhsa_system_sgpr_workgroup_id_x 1
		.amdhsa_system_sgpr_workgroup_id_y 0
		.amdhsa_system_sgpr_workgroup_id_z 0
		.amdhsa_system_sgpr_workgroup_info 0
		.amdhsa_system_vgpr_workitem_id 0
		.amdhsa_next_free_vgpr 128
		.amdhsa_next_free_sgpr 48
		.amdhsa_reserve_vcc 1
		.amdhsa_reserve_flat_scratch 0
		.amdhsa_float_round_mode_32 0
		.amdhsa_float_round_mode_16_64 0
		.amdhsa_float_denorm_mode_32 3
		.amdhsa_float_denorm_mode_16_64 3
		.amdhsa_dx10_clamp 1
		.amdhsa_ieee_mode 1
		.amdhsa_fp16_overflow 0
		.amdhsa_workgroup_processor_mode 1
		.amdhsa_memory_ordered 1
		.amdhsa_forward_progress 1
		.amdhsa_shared_vgpr_count 0
		.amdhsa_exception_fp_ieee_invalid_op 0
		.amdhsa_exception_fp_denorm_src 0
		.amdhsa_exception_fp_ieee_div_zero 0
		.amdhsa_exception_fp_ieee_overflow 0
		.amdhsa_exception_fp_ieee_underflow 0
		.amdhsa_exception_fp_ieee_inexact 0
		.amdhsa_exception_int_div_zero 0
	.end_amdhsa_kernel
	.text
.Lfunc_end0:
	.size	SortSinglePassKernel, .Lfunc_end0-SortSinglePassKernel
                                        ; -- End function
	.set SortSinglePassKernel.num_vgpr, 128
	.set SortSinglePassKernel.num_agpr, 0
	.set SortSinglePassKernel.numbered_sgpr, 48
	.set SortSinglePassKernel.num_named_barrier, 0
	.set SortSinglePassKernel.private_seg_size, 12
	.set SortSinglePassKernel.uses_vcc, 1
	.set SortSinglePassKernel.uses_flat_scratch, 0
	.set SortSinglePassKernel.has_dyn_sized_stack, 0
	.set SortSinglePassKernel.has_recursion, 0
	.set SortSinglePassKernel.has_indirect_call, 0
	.section	.AMDGPU.csdata,"",@progbits
; Kernel info:
; codeLenInByte = 12552
; TotalNumSgprs: 50
; NumVgprs: 128
; ScratchSize: 12
; MemoryBound: 0
; FloatMode: 240
; IeeeMode: 1
; LDSByteSize: 17456 bytes/workgroup (compile time only)
; SGPRBlocks: 0
; VGPRBlocks: 15
; NumSGPRsForWavesPerEU: 50
; NumVGPRsForWavesPerEU: 128
; Occupancy: 8
; WaveLimiterHint : 0
; COMPUTE_PGM_RSRC2:SCRATCH_EN: 1
; COMPUTE_PGM_RSRC2:USER_SGPR: 6
; COMPUTE_PGM_RSRC2:TRAP_HANDLER: 0
; COMPUTE_PGM_RSRC2:TGID_X_EN: 1
; COMPUTE_PGM_RSRC2:TGID_Y_EN: 0
; COMPUTE_PGM_RSRC2:TGID_Z_EN: 0
; COMPUTE_PGM_RSRC2:TIDIG_COMP_CNT: 0
	.text
	.protected	SortSinglePassKVKernel  ; -- Begin function SortSinglePassKVKernel
	.globl	SortSinglePassKVKernel
	.p2align	8
	.type	SortSinglePassKVKernel,@function
SortSinglePassKVKernel:                 ; @SortSinglePassKVKernel
; %bb.0:
	s_mov_b64 s[50:51], s[2:3]
	s_mov_b64 s[48:49], s[0:1]
	s_add_u32 s48, s48, s7
	s_addc_u32 s49, s49, 0
	s_cmp_lg_u32 s6, 0
	s_cbranch_scc0 .LBB1_2
.LBB1_1:
	s_endpgm
.LBB1_2:
	s_clause 0x1
	s_load_dwordx4 s[44:47], s[4:5], 0x20
	s_load_dwordx8 s[36:43], s[4:5], 0x0
	v_mul_u32_u24_e32 v48, 24, v0
	v_mov_b32_e32 v2, -1
	v_mov_b32_e32 v1, -1
	;; [unrolled: 1-line block ×3, first 2 shown]
	v_lshlrev_b32_e32 v57, 2, v48
	s_waitcnt lgkmcnt(0)
	v_cmp_gt_i32_e32 vcc_lo, s44, v48
	s_and_saveexec_b32 s0, vcc_lo
	s_cbranch_execz .LBB1_4
; %bb.3:
	s_clause 0x1
	global_load_dword v1, v57, s[36:37]
	global_load_dword v5, v57, s[38:39]
.LBB1_4:
	s_or_b32 exec_lo, exec_lo, s0
	v_or_b32_e32 v3, 1, v48
	v_mov_b32_e32 v6, -1
	s_waitcnt vmcnt(0)
	ds_write2st64_b32 v57, v1, v5 offset1:48
	v_cmp_gt_i32_e64 s0, s44, v3
	s_and_saveexec_b32 s1, s0
	s_cbranch_execz .LBB1_6
; %bb.5:
	s_clause 0x1
	global_load_dword v2, v57, s[36:37] offset:4
	global_load_dword v6, v57, s[38:39] offset:4
.LBB1_6:
	s_or_b32 exec_lo, exec_lo, s1
	v_or_b32_e32 v7, 2, v48
	v_mov_b32_e32 v4, -1
	v_mov_b32_e32 v3, -1
	v_add_nc_u32_e32 v8, 0x3000, v57
	s_waitcnt vmcnt(1)
	ds_write_b32 v57, v2 offset:4
	v_cmp_gt_i32_e64 s1, s44, v7
	v_mov_b32_e32 v7, -1
	s_waitcnt vmcnt(0)
	ds_write_b32 v8, v6 offset:4
	s_and_saveexec_b32 s2, s1
	s_cbranch_execz .LBB1_8
; %bb.7:
	s_clause 0x1
	global_load_dword v3, v57, s[36:37] offset:8
	global_load_dword v7, v57, s[38:39] offset:8
.LBB1_8:
	s_or_b32 exec_lo, exec_lo, s2
	v_or_b32_e32 v8, 3, v48
	v_add_nc_u32_e32 v9, 0x3000, v57
	s_waitcnt vmcnt(1)
	ds_write_b32 v57, v3 offset:8
	v_cmp_gt_i32_e64 s2, s44, v8
	v_mov_b32_e32 v8, -1
	s_waitcnt vmcnt(0)
	ds_write_b32 v9, v7 offset:8
	s_and_saveexec_b32 s3, s2
	s_cbranch_execz .LBB1_10
; %bb.9:
	s_clause 0x1
	global_load_dword v4, v57, s[36:37] offset:12
	global_load_dword v8, v57, s[38:39] offset:12
.LBB1_10:
	s_or_b32 exec_lo, exec_lo, s3
	v_or_b32_e32 v11, 4, v48
	v_mov_b32_e32 v10, -1
	v_mov_b32_e32 v9, -1
	;; [unrolled: 1-line block ×3, first 2 shown]
	s_waitcnt vmcnt(1)
	ds_write_b32 v57, v4 offset:12
	v_cmp_gt_i32_e64 s3, s44, v11
	v_add_nc_u32_e32 v11, 0x3000, v57
	s_waitcnt vmcnt(0)
	ds_write_b32 v11, v8 offset:12
	s_and_saveexec_b32 s4, s3
	s_cbranch_execz .LBB1_12
; %bb.11:
	s_clause 0x1
	global_load_dword v9, v57, s[36:37] offset:16
	global_load_dword v13, v57, s[38:39] offset:16
.LBB1_12:
	s_or_b32 exec_lo, exec_lo, s4
	v_or_b32_e32 v11, 5, v48
	v_mov_b32_e32 v14, -1
	s_waitcnt vmcnt(1)
	ds_write_b32 v57, v9 offset:16
	v_cmp_gt_i32_e64 s4, s44, v11
	v_add_nc_u32_e32 v11, 0x3000, v57
	s_waitcnt vmcnt(0)
	ds_write_b32 v11, v13 offset:16
	s_and_saveexec_b32 s5, s4
	s_cbranch_execz .LBB1_14
; %bb.13:
	s_clause 0x1
	global_load_dword v10, v57, s[36:37] offset:20
	global_load_dword v14, v57, s[38:39] offset:20
.LBB1_14:
	s_or_b32 exec_lo, exec_lo, s5
	v_or_b32_e32 v15, 6, v48
	v_mov_b32_e32 v12, -1
	v_mov_b32_e32 v11, -1
	v_add_nc_u32_e32 v16, 0x3000, v57
	s_waitcnt vmcnt(1)
	ds_write_b32 v57, v10 offset:20
	v_cmp_gt_i32_e64 s5, s44, v15
	v_mov_b32_e32 v15, -1
	s_waitcnt vmcnt(0)
	ds_write_b32 v16, v14 offset:20
	s_and_saveexec_b32 s6, s5
	s_cbranch_execz .LBB1_16
; %bb.15:
	s_clause 0x1
	global_load_dword v11, v57, s[36:37] offset:24
	global_load_dword v15, v57, s[38:39] offset:24
.LBB1_16:
	s_or_b32 exec_lo, exec_lo, s6
	v_or_b32_e32 v16, 7, v48
	v_add_nc_u32_e32 v17, 0x3000, v57
	s_waitcnt vmcnt(1)
	ds_write_b32 v57, v11 offset:24
	v_cmp_gt_i32_e64 s6, s44, v16
	v_mov_b32_e32 v16, -1
	s_waitcnt vmcnt(0)
	ds_write_b32 v17, v15 offset:24
	s_and_saveexec_b32 s7, s6
	s_cbranch_execz .LBB1_18
; %bb.17:
	s_clause 0x1
	global_load_dword v12, v57, s[36:37] offset:28
	global_load_dword v16, v57, s[38:39] offset:28
.LBB1_18:
	s_or_b32 exec_lo, exec_lo, s7
	v_add_nc_u32_e32 v19, 8, v48
	v_mov_b32_e32 v18, -1
	v_mov_b32_e32 v17, -1
	v_mov_b32_e32 v25, -1
	s_waitcnt vmcnt(1)
	ds_write_b32 v57, v12 offset:28
	v_cmp_gt_i32_e64 s7, s44, v19
	v_add_nc_u32_e32 v19, 0x3000, v57
	s_waitcnt vmcnt(0)
	ds_write_b32 v19, v16 offset:28
	s_and_saveexec_b32 s8, s7
	s_cbranch_execz .LBB1_20
; %bb.19:
	s_clause 0x1
	global_load_dword v17, v57, s[36:37] offset:32
	global_load_dword v25, v57, s[38:39] offset:32
.LBB1_20:
	s_or_b32 exec_lo, exec_lo, s8
	v_add_nc_u32_e32 v19, 9, v48
	v_mov_b32_e32 v26, -1
	s_waitcnt vmcnt(1)
	ds_write_b32 v57, v17 offset:32
	v_cmp_gt_i32_e64 s8, s44, v19
	v_add_nc_u32_e32 v19, 0x3000, v57
	s_waitcnt vmcnt(0)
	ds_write_b32 v19, v25 offset:32
	s_and_saveexec_b32 s9, s8
	s_cbranch_execz .LBB1_22
; %bb.21:
	s_clause 0x1
	global_load_dword v18, v57, s[36:37] offset:36
	global_load_dword v26, v57, s[38:39] offset:36
.LBB1_22:
	s_or_b32 exec_lo, exec_lo, s9
	v_add_nc_u32_e32 v21, 10, v48
	v_mov_b32_e32 v20, -1
	v_mov_b32_e32 v19, -1
	v_mov_b32_e32 v27, -1
	s_waitcnt vmcnt(1)
	ds_write_b32 v57, v18 offset:36
	v_cmp_gt_i32_e64 s9, s44, v21
	v_add_nc_u32_e32 v21, 0x3000, v57
	s_waitcnt vmcnt(0)
	ds_write_b32 v21, v26 offset:36
	s_and_saveexec_b32 s10, s9
	s_cbranch_execz .LBB1_24
; %bb.23:
	s_clause 0x1
	global_load_dword v19, v57, s[36:37] offset:40
	global_load_dword v27, v57, s[38:39] offset:40
.LBB1_24:
	s_or_b32 exec_lo, exec_lo, s10
	v_add_nc_u32_e32 v21, 11, v48
	v_mov_b32_e32 v28, -1
	s_waitcnt vmcnt(1)
	ds_write_b32 v57, v19 offset:40
	v_cmp_gt_i32_e64 s10, s44, v21
	v_add_nc_u32_e32 v21, 0x3000, v57
	;; [unrolled: 34-line block ×3, first 2 shown]
	s_waitcnt vmcnt(0)
	ds_write_b32 v23, v29 offset:48
	s_and_saveexec_b32 s13, s12
	s_cbranch_execz .LBB1_30
; %bb.29:
	s_clause 0x1
	global_load_dword v22, v57, s[36:37] offset:52
	global_load_dword v30, v57, s[38:39] offset:52
.LBB1_30:
	s_or_b32 exec_lo, exec_lo, s13
	v_add_nc_u32_e32 v31, 14, v48
	v_mov_b32_e32 v24, -1
	v_mov_b32_e32 v23, -1
	v_add_nc_u32_e32 v32, 0x3000, v57
	s_waitcnt vmcnt(1)
	ds_write_b32 v57, v22 offset:52
	v_cmp_gt_i32_e64 s13, s44, v31
	v_mov_b32_e32 v31, -1
	s_waitcnt vmcnt(0)
	ds_write_b32 v32, v30 offset:52
	s_and_saveexec_b32 s14, s13
	s_cbranch_execz .LBB1_32
; %bb.31:
	s_clause 0x1
	global_load_dword v23, v57, s[36:37] offset:56
	global_load_dword v31, v57, s[38:39] offset:56
.LBB1_32:
	s_or_b32 exec_lo, exec_lo, s14
	v_add_nc_u32_e32 v32, 15, v48
	v_add_nc_u32_e32 v33, 0x3000, v57
	s_waitcnt vmcnt(1)
	ds_write_b32 v57, v23 offset:56
	v_cmp_gt_i32_e64 s14, s44, v32
	v_mov_b32_e32 v32, -1
	s_waitcnt vmcnt(0)
	ds_write_b32 v33, v31 offset:56
	s_and_saveexec_b32 s15, s14
	s_cbranch_execz .LBB1_34
; %bb.33:
	s_clause 0x1
	global_load_dword v24, v57, s[36:37] offset:60
	global_load_dword v32, v57, s[38:39] offset:60
.LBB1_34:
	s_or_b32 exec_lo, exec_lo, s15
	v_add_nc_u32_e32 v35, 16, v48
	v_mov_b32_e32 v34, -1
	v_mov_b32_e32 v33, -1
	;; [unrolled: 1-line block ×3, first 2 shown]
	s_waitcnt vmcnt(1)
	ds_write_b32 v57, v24 offset:60
	v_cmp_gt_i32_e64 s15, s44, v35
	v_add_nc_u32_e32 v35, 0x3000, v57
	s_waitcnt vmcnt(0)
	ds_write_b32 v35, v32 offset:60
	s_and_saveexec_b32 s16, s15
	s_cbranch_execz .LBB1_36
; %bb.35:
	s_clause 0x1
	global_load_dword v33, v57, s[36:37] offset:64
	global_load_dword v37, v57, s[38:39] offset:64
.LBB1_36:
	s_or_b32 exec_lo, exec_lo, s16
	v_add_nc_u32_e32 v35, 17, v48
	v_mov_b32_e32 v38, -1
	s_waitcnt vmcnt(1)
	ds_write_b32 v57, v33 offset:64
	v_cmp_gt_i32_e64 s16, s44, v35
	v_add_nc_u32_e32 v35, 0x3000, v57
	s_waitcnt vmcnt(0)
	ds_write_b32 v35, v37 offset:64
	s_and_saveexec_b32 s17, s16
	s_cbranch_execz .LBB1_38
; %bb.37:
	s_clause 0x1
	global_load_dword v34, v57, s[36:37] offset:68
	global_load_dword v38, v57, s[38:39] offset:68
.LBB1_38:
	s_or_b32 exec_lo, exec_lo, s17
	v_add_nc_u32_e32 v39, 18, v48
	v_mov_b32_e32 v36, -1
	v_mov_b32_e32 v35, -1
	v_add_nc_u32_e32 v40, 0x3000, v57
	s_waitcnt vmcnt(1)
	ds_write_b32 v57, v34 offset:68
	v_cmp_gt_i32_e64 s17, s44, v39
	v_mov_b32_e32 v39, -1
	s_waitcnt vmcnt(0)
	ds_write_b32 v40, v38 offset:68
	s_and_saveexec_b32 s18, s17
	s_cbranch_execz .LBB1_40
; %bb.39:
	s_clause 0x1
	global_load_dword v35, v57, s[36:37] offset:72
	global_load_dword v39, v57, s[38:39] offset:72
.LBB1_40:
	s_or_b32 exec_lo, exec_lo, s18
	v_add_nc_u32_e32 v40, 19, v48
	v_add_nc_u32_e32 v41, 0x3000, v57
	s_waitcnt vmcnt(1)
	ds_write_b32 v57, v35 offset:72
	v_cmp_gt_i32_e64 s18, s44, v40
	v_mov_b32_e32 v40, -1
	s_waitcnt vmcnt(0)
	ds_write_b32 v41, v39 offset:72
	s_and_saveexec_b32 s19, s18
	s_cbranch_execz .LBB1_42
; %bb.41:
	s_clause 0x1
	global_load_dword v36, v57, s[36:37] offset:76
	global_load_dword v40, v57, s[38:39] offset:76
.LBB1_42:
	s_or_b32 exec_lo, exec_lo, s19
	v_add_nc_u32_e32 v43, 20, v48
	v_mov_b32_e32 v42, -1
	v_mov_b32_e32 v41, -1
	v_mov_b32_e32 v45, -1
	s_waitcnt vmcnt(1)
	ds_write_b32 v57, v36 offset:76
	v_cmp_gt_i32_e64 s19, s44, v43
	v_add_nc_u32_e32 v43, 0x3000, v57
	s_waitcnt vmcnt(0)
	ds_write_b32 v43, v40 offset:76
	s_and_saveexec_b32 s20, s19
	s_cbranch_execz .LBB1_44
; %bb.43:
	s_clause 0x1
	global_load_dword v41, v57, s[36:37] offset:80
	global_load_dword v45, v57, s[38:39] offset:80
.LBB1_44:
	s_or_b32 exec_lo, exec_lo, s20
	v_add_nc_u32_e32 v43, 21, v48
	v_mov_b32_e32 v46, -1
	s_waitcnt vmcnt(1)
	ds_write_b32 v57, v41 offset:80
	v_cmp_gt_i32_e64 s20, s44, v43
	v_add_nc_u32_e32 v43, 0x3000, v57
	s_waitcnt vmcnt(0)
	ds_write_b32 v43, v45 offset:80
	s_and_saveexec_b32 s21, s20
	s_cbranch_execz .LBB1_46
; %bb.45:
	s_clause 0x1
	global_load_dword v42, v57, s[36:37] offset:84
	global_load_dword v46, v57, s[38:39] offset:84
.LBB1_46:
	s_or_b32 exec_lo, exec_lo, s21
	v_add_nc_u32_e32 v47, 22, v48
	v_mov_b32_e32 v44, -1
	v_mov_b32_e32 v43, -1
	v_add_nc_u32_e32 v49, 0x3000, v57
	s_waitcnt vmcnt(1)
	ds_write_b32 v57, v42 offset:84
	v_cmp_gt_i32_e64 s21, s44, v47
	v_mov_b32_e32 v47, -1
	s_waitcnt vmcnt(0)
	ds_write_b32 v49, v46 offset:84
	s_and_saveexec_b32 s22, s21
	s_cbranch_execz .LBB1_48
; %bb.47:
	s_clause 0x1
	global_load_dword v43, v57, s[36:37] offset:88
	global_load_dword v47, v57, s[38:39] offset:88
.LBB1_48:
	s_or_b32 exec_lo, exec_lo, s22
	v_add_nc_u32_e32 v48, 23, v48
	v_add_nc_u32_e32 v49, 0x3000, v57
	s_waitcnt vmcnt(1)
	ds_write_b32 v57, v43 offset:88
	v_cmp_gt_i32_e64 s22, s44, v48
	v_mov_b32_e32 v48, -1
	s_waitcnt vmcnt(0)
	ds_write_b32 v49, v47 offset:88
	s_and_saveexec_b32 s23, s22
	s_cbranch_execz .LBB1_50
; %bb.49:
	s_clause 0x1
	global_load_dword v44, v57, s[36:37] offset:92
	global_load_dword v48, v57, s[38:39] offset:92
.LBB1_50:
	s_or_b32 exec_lo, exec_lo, s23
	v_add_nc_u32_e32 v49, 0x3000, v57
	s_cmp_lt_i32 s45, s46
	s_waitcnt vmcnt(1)
	ds_write_b32 v57, v44 offset:92
	s_waitcnt vmcnt(0)
	ds_write_b32 v49, v48 offset:92
	s_waitcnt lgkmcnt(0)
	s_barrier
	buffer_gl0_inv
	s_cbranch_scc0 .LBB1_149
; %bb.51:
	v_lshlrev_b32_e32 v49, 1, v0
	s_mov_b32 s30, 0
	v_lshlrev_b32_e32 v59, 3, v0
	s_mov_b32 s31, s30
	v_lshl_add_u32 v60, v0, 5, 0x6000
	v_or_b32_e32 v50, 1, v49
	v_add_nc_u32_e32 v49, 2, v49
	v_cmp_gt_u32_e64 s23, 64, v0
	v_cmp_gt_u32_e64 s24, 32, v0
	;; [unrolled: 1-line block ×3, first 2 shown]
	v_lshlrev_b32_e32 v51, 2, v50
	v_lshlrev_b32_e32 v63, 4, v50
	;; [unrolled: 1-line block ×6, first 2 shown]
	buffer_store_dword v51, off, s[48:51], 0 ; 4-byte Folded Spill
	v_lshlrev_b32_e32 v51, 2, v49
	v_lshlrev_b32_e32 v50, 3, v50
	;; [unrolled: 1-line block ×5, first 2 shown]
	buffer_store_dword v51, off, s[48:51], 0 offset:4 ; 4-byte Folded Spill
	buffer_store_dword v50, off, s[48:51], 0 offset:8 ; 4-byte Folded Spill
	v_mov_b32_e32 v51, s31
	v_lshlrev_b32_e32 v68, 7, v49
	v_lshlrev_b32_e32 v70, 8, v49
	;; [unrolled: 1-line block ×3, first 2 shown]
	v_mov_b32_e32 v50, s30
	v_cmp_gt_u32_e64 s26, 8, v0
	v_cmp_gt_u32_e64 s27, 4, v0
	;; [unrolled: 1-line block ×3, first 2 shown]
	v_cmp_eq_u32_e64 s29, 0, v0
	v_mul_i32_i24_e32 v0, 0xffffffe4, v0
	s_mov_b32 s35, s30
	buffer_store_dword v49, off, s[48:51], 0 offset:12 ; 4-byte Folded Spill
	s_mov_b32 s34, s30
	buffer_store_dword v50, off, s[48:51], 0 offset:96 ; 4-byte Folded Spill
	buffer_store_dword v51, off, s[48:51], 0 offset:100 ; 4-byte Folded Spill
	v_mov_b32_e32 v51, s35
	v_add_nc_u32_e32 v61, 0x7020, v59
	v_mov_b32_e32 v49, 0
	v_mov_b32_e32 v50, s34
	v_add_nc_u32_e32 v0, v60, v0
	buffer_store_dword v50, off, s[48:51], 0 offset:104 ; 4-byte Folded Spill
	buffer_store_dword v51, off, s[48:51], 0 offset:108 ; 4-byte Folded Spill
	;; [unrolled: 1-line block ×3, first 2 shown]
	s_branch .LBB1_53
.LBB1_52:                               ;   in Loop: Header=BB1_53 Depth=1
	s_or_b32 exec_lo, exec_lo, s30
	s_clause 0x1
	buffer_load_dword v50, off, s[48:51], 0 offset:28
	buffer_load_dword v55, off, s[48:51], 0 offset:32
	s_waitcnt vmcnt(0) lgkmcnt(0)
	s_barrier
	buffer_gl0_inv
	s_barrier
	buffer_gl0_inv
	;; [unrolled: 2-line block ×3, first 2 shown]
	v_lshl_or_b32 v95, v95, 3, v97
	s_add_i32 s45, s45, 8
	s_cmp_ge_i32 s45, s46
	v_lshl_or_b32 v50, v50, 3, v55
	ds_read_u16 v50, v50 offset:28672
	ds_read_u16 v55, v77
	s_waitcnt lgkmcnt(0)
	v_add_nc_u16 v56, v55, 1
	v_and_b32_e32 v55, 0xffff, v55
	ds_write_b16 v77, v56
	s_clause 0x1
	buffer_load_dword v56, off, s[48:51], 0 offset:20
	buffer_load_dword v77, off, s[48:51], 0 offset:24
	v_add_lshl_u32 v50, v55, v50, 2
	s_waitcnt vmcnt(0)
	v_lshl_or_b32 v56, v56, 3, v77
	ds_read_u16 v56, v56 offset:28672
	ds_read_u16 v77, v83
	s_waitcnt lgkmcnt(0)
	v_add_nc_u16 v92, v77, 1
	v_and_b32_e32 v55, 0xffff, v77
	ds_write_b16 v83, v92
	s_clause 0x1
	buffer_load_dword v83, off, s[48:51], 0 offset:36
	buffer_load_dword v92, off, s[48:51], 0 offset:40
	v_add_lshl_u32 v55, v55, v56, 2
	s_waitcnt vmcnt(0)
	v_lshl_or_b32 v83, v83, 3, v92
	ds_read_u16 v83, v83 offset:28672
	ds_read_u16 v92, v103
	s_waitcnt lgkmcnt(0)
	v_add_nc_u16 v111, v92, 1
	v_and_b32_e32 v56, 0xffff, v92
	ds_write_b16 v103, v111
	v_add_lshl_u32 v56, v56, v83, 2
	ds_read_u16 v77, v95 offset:28672
	ds_read_u16 v83, v51
	s_waitcnt lgkmcnt(0)
	v_and_b32_e32 v92, 0xffff, v83
	v_add_lshl_u32 v77, v92, v77, 2
	ds_write2st64_b32 v50, v28, v44 offset1:48
	ds_write2st64_b32 v55, v29, v45 offset1:48
	ds_write2st64_b32 v56, v30, v46 offset1:48
	ds_write2st64_b32 v77, v31, v47 offset1:48
	v_add_nc_u16 v28, v83, 1
	ds_write_b16 v51, v28
	v_lshl_or_b32 v28, v100, 3, v102
	ds_read_u16 v28, v28 offset:28672
	ds_read_u16 v29, v118
	s_waitcnt lgkmcnt(0)
	v_add_nc_u16 v30, v29, 1
	v_and_b32_e32 v29, 0xffff, v29
	ds_write_b16 v118, v30
	v_lshl_or_b32 v30, v90, 3, v91
	ds_read_u16 v30, v30 offset:28672
	ds_read_u16 v31, v85
	v_add_lshl_u32 v28, v29, v28, 2
	s_waitcnt lgkmcnt(0)
	v_add_nc_u16 v44, v31, 1
	v_and_b32_e32 v29, 0xffff, v31
	ds_write_b16 v85, v44
	v_lshl_or_b32 v44, v84, 3, v86
	ds_read_u16 v44, v44 offset:28672
	ds_read_u16 v45, v81
	v_add_lshl_u32 v29, v29, v30, 2
	s_waitcnt lgkmcnt(0)
	v_add_nc_u16 v46, v45, 1
	v_and_b32_e32 v30, 0xffff, v45
	ds_write_b16 v81, v46
	v_lshl_or_b32 v46, v80, 3, v82
	v_add_lshl_u32 v30, v30, v44, 2
	ds_read_u16 v31, v46 offset:28672
	ds_read_u16 v44, v127
	s_waitcnt lgkmcnt(0)
	v_and_b32_e32 v45, 0xffff, v44
	v_add_lshl_u32 v31, v45, v31, 2
	ds_write2st64_b32 v28, v24, v40 offset1:48
	ds_write2st64_b32 v29, v25, v41 offset1:48
	ds_write2st64_b32 v30, v26, v42 offset1:48
	ds_write2st64_b32 v31, v27, v43 offset1:48
	v_add_nc_u16 v24, v44, 1
	ds_write_b16 v127, v24
	v_lshl_or_b32 v24, v78, 3, v79
	ds_read_u16 v24, v24 offset:28672
	ds_read_u16 v25, v125
	s_waitcnt lgkmcnt(0)
	v_add_nc_u16 v26, v25, 1
	v_and_b32_e32 v25, 0xffff, v25
	ds_write_b16 v125, v26
	v_lshl_or_b32 v26, v104, 3, v126
	ds_read_u16 v26, v26 offset:28672
	ds_read_u16 v27, v120
	v_add_lshl_u32 v24, v25, v24, 2
	s_waitcnt lgkmcnt(0)
	v_add_nc_u16 v28, v27, 1
	v_and_b32_e32 v25, 0xffff, v27
	ds_write_b16 v120, v28
	v_lshl_or_b32 v28, v119, 3, v99
	ds_read_u16 v28, v28 offset:28672
	ds_read_u16 v29, v116
	v_add_lshl_u32 v25, v25, v26, 2
	s_waitcnt lgkmcnt(0)
	v_add_nc_u16 v30, v29, 1
	v_and_b32_e32 v26, 0xffff, v29
	ds_write_b16 v116, v30
	v_lshl_or_b32 v30, v115, 3, v117
	;; [unrolled: 36-line block ×3, first 2 shown]
	v_add_lshl_u32 v22, v22, v24, 2
	ds_read_u16 v23, v26 offset:28672
	ds_read_u16 v24, v107
	s_waitcnt lgkmcnt(0)
	v_and_b32_e32 v25, 0xffff, v24
	v_add_lshl_u32 v23, v25, v23, 2
	ds_write2st64_b32 v20, v8, v32 offset1:48
	ds_write2st64_b32 v21, v9, v33 offset1:48
	;; [unrolled: 1-line block ×4, first 2 shown]
	v_add_nc_u16 v8, v24, 1
	ds_write_b16 v107, v8
	v_lshl_or_b32 v8, v108, 3, v109
	ds_read_u16 v9, v8 offset:28672
	ds_read_u16 v10, v105
	s_waitcnt lgkmcnt(0)
	v_add_nc_u16 v8, v10, 1
	v_and_b32_e32 v10, 0xffff, v10
	ds_write_b16 v105, v8
	buffer_load_dword v8, off, s[48:51], 0 offset:92 ; 4-byte Folded Reload
	v_add_lshl_u32 v9, v10, v9, 2
	s_waitcnt vmcnt(0)
	v_lshl_or_b32 v8, v8, 3, v106
	ds_read_u16 v11, v8 offset:28672
	ds_read_u16 v20, v101
	s_waitcnt lgkmcnt(0)
	v_add_nc_u16 v8, v20, 1
	v_and_b32_e32 v10, 0xffff, v20
	ds_write_b16 v101, v8
	s_clause 0x1
	buffer_load_dword v8, off, s[48:51], 0 offset:84
	buffer_load_dword v21, off, s[48:51], 0 offset:88
	v_add_lshl_u32 v10, v10, v11, 2
	s_waitcnt vmcnt(0)
	v_lshl_or_b32 v8, v8, 3, v21
	ds_read_u16 v21, v8 offset:28672
	ds_read_u16 v22, v98
	s_waitcnt lgkmcnt(0)
	v_add_nc_u16 v8, v22, 1
	v_and_b32_e32 v11, 0xffff, v22
	ds_write_b16 v98, v8
	s_clause 0x1
	buffer_load_dword v8, off, s[48:51], 0 offset:76
	buffer_load_dword v23, off, s[48:51], 0 offset:80
	v_add_lshl_u32 v11, v11, v21, 2
	s_waitcnt vmcnt(0)
	v_lshl_or_b32 v8, v8, 3, v23
	ds_read_u16 v23, v8 offset:28672
	ds_read_u16 v24, v96
	s_waitcnt lgkmcnt(0)
	v_add_nc_u16 v8, v24, 1
	ds_write_b16 v96, v8
	s_clause 0x1
	buffer_load_dword v8, off, s[48:51], 0 offset:64
	buffer_load_dword v25, off, s[48:51], 0 offset:72
	s_waitcnt vmcnt(0)
	v_lshl_or_b32 v8, v8, 3, v25
	ds_read_u16 v8, v8 offset:28672
	ds_read_u16 v25, v89
	s_waitcnt lgkmcnt(0)
	v_add_nc_u16 v26, v25, 1
	ds_write_b16 v89, v26
	s_clause 0x1
	buffer_load_dword v26, off, s[48:51], 0 offset:52
	buffer_load_dword v27, off, s[48:51], 0 offset:56
	;; [unrolled: 10-line block ×4, first 2 shown]
	ds_write2st64_b32 v9, v0, v16 offset1:48
	ds_write2st64_b32 v10, v1, v17 offset1:48
	;; [unrolled: 1-line block ×3, first 2 shown]
	v_and_b32_e32 v0, 0xffff, v24
	v_and_b32_e32 v9, 0xffff, v25
	;; [unrolled: 1-line block ×4, first 2 shown]
	v_add_lshl_u32 v0, v0, v23, 2
	s_waitcnt vmcnt(0)
	v_lshl_or_b32 v20, v20, 3, v21
	ds_read_u16 v1, v48
	ds_read_u16 v2, v20 offset:28672
	ds_write2st64_b32 v0, v3, v19 offset1:48
	v_add_lshl_u32 v3, v9, v8, 2
	v_add_lshl_u32 v8, v10, v26, 2
	;; [unrolled: 1-line block ×3, first 2 shown]
	s_waitcnt lgkmcnt(2)
	v_and_b32_e32 v0, 0xffff, v1
	v_add_nc_u16 v1, v1, 1
	s_waitcnt lgkmcnt(1)
	v_add_lshl_u32 v0, v0, v2, 2
	ds_write2st64_b32 v3, v4, v12 offset1:48
	ds_write2st64_b32 v8, v5, v13 offset1:48
	;; [unrolled: 1-line block ×3, first 2 shown]
	ds_write_b16 v48, v1
	ds_write2st64_b32 v0, v7, v15 offset1:48
	v_add_nc_u32_e32 v0, 0x3000, v57
	s_waitcnt lgkmcnt(0)
	s_barrier
	buffer_gl0_inv
	ds_read_b128 v[1:4], v57
	ds_read_b128 v[9:12], v57 offset:16
	ds_read_b128 v[17:20], v57 offset:32
	;; [unrolled: 1-line block ×3, first 2 shown]
	ds_read_b128 v[5:8], v0
	ds_read_b128 v[13:16], v0 offset:16
	ds_read_b128 v[25:28], v0 offset:32
	;; [unrolled: 1-line block ×7, first 2 shown]
	s_cbranch_scc1 .LBB1_149
.LBB1_53:                               ; =>This Loop Header: Depth=1
                                        ;     Child Loop BB1_55 Depth 2
                                        ;     Child Loop BB1_103 Depth 2
	s_waitcnt lgkmcnt(11)
	v_ashrrev_i32_e32 v0, s45, v1
	s_mov_b32 s31, 0
	v_and_b32_e32 v50, 3, v0
	v_bfe_u32 v0, v0, 2, 2
	v_lshlrev_b32_e32 v100, 1, v50
	buffer_store_dword v0, off, s[48:51], 0 offset:84 ; 4-byte Folded Spill
	s_clause 0x3
	buffer_load_dword v50, off, s[48:51], 0 offset:96
	buffer_load_dword v51, off, s[48:51], 0 offset:100
	;; [unrolled: 1-line block ×4, first 2 shown]
	v_lshlrev_b32_e32 v0, 3, v0
	s_waitcnt vmcnt(0)
	ds_write2_b64 v60, v[50:51], v[52:53] offset1:1
	ds_write2_b64 v60, v[50:51], v[52:53] offset0:2 offset1:3
	v_add3_u32 v99, v60, v0, v100
	ds_read_u16 v0, v99
	s_waitcnt lgkmcnt(0)
	v_add_nc_u16 v0, v0, 1
	ds_write_b16 v99, v0
	v_ashrrev_i32_e32 v0, s45, v2
	v_and_b32_e32 v50, 3, v0
	v_bfe_u32 v108, v0, 2, 2
	v_lshlrev_b32_e32 v109, 1, v50
	v_lshlrev_b32_e32 v0, 3, v108
	v_add3_u32 v107, v60, v0, v109
	ds_read_u16 v0, v107
	s_waitcnt lgkmcnt(0)
	v_add_nc_u16 v0, v0, 1
	ds_write_b16 v107, v0
	v_ashrrev_i32_e32 v0, s45, v3
	v_and_b32_e32 v50, 3, v0
	v_bfe_u32 v94, v0, 2, 2
	v_lshlrev_b32_e32 v97, 1, v50
	v_lshlrev_b32_e32 v0, 3, v94
	;; [unrolled: 10-line block ×3, first 2 shown]
	v_add3_u32 v0, v60, v0, v118
	ds_read_u16 v50, v0
	s_waitcnt lgkmcnt(0)
	v_add_nc_u16 v50, v50, 1
	ds_write_b16 v0, v50
	v_ashrrev_i32_e32 v50, s45, v9
	v_and_b32_e32 v51, 3, v50
	v_bfe_u32 v50, v50, 2, 2
	v_lshlrev_b32_e32 v51, 1, v51
	buffer_store_dword v50, off, s[48:51], 0 offset:20 ; 4-byte Folded Spill
	v_lshlrev_b32_e32 v50, 3, v50
	buffer_store_dword v51, off, s[48:51], 0 offset:24 ; 4-byte Folded Spill
	v_add3_u32 v77, v60, v50, v51
	ds_read_u16 v50, v77
	s_waitcnt lgkmcnt(0)
	v_add_nc_u16 v50, v50, 1
	ds_write_b16 v77, v50
	v_ashrrev_i32_e32 v50, s45, v10
	v_and_b32_e32 v51, 3, v50
	v_bfe_u32 v50, v50, 2, 2
	v_lshlrev_b32_e32 v51, 1, v51
	buffer_store_dword v50, off, s[48:51], 0 offset:28 ; 4-byte Folded Spill
	v_lshlrev_b32_e32 v50, 3, v50
	buffer_store_dword v51, off, s[48:51], 0 offset:32 ; 4-byte Folded Spill
	v_add3_u32 v80, v60, v50, v51
	ds_read_u16 v50, v80
	s_waitcnt lgkmcnt(0)
	v_add_nc_u16 v50, v50, 1
	ds_write_b16 v80, v50
	v_ashrrev_i32_e32 v50, s45, v11
	v_and_b32_e32 v51, 3, v50
	v_bfe_u32 v50, v50, 2, 2
	v_lshlrev_b32_e32 v51, 1, v51
	buffer_store_dword v50, off, s[48:51], 0 offset:36 ; 4-byte Folded Spill
	v_lshlrev_b32_e32 v50, 3, v50
	buffer_store_dword v51, off, s[48:51], 0 offset:40 ; 4-byte Folded Spill
	v_add3_u32 v83, v60, v50, v51
	ds_read_u16 v50, v83
	s_waitcnt lgkmcnt(0)
	v_add_nc_u16 v50, v50, 1
	ds_write_b16 v83, v50
	v_ashrrev_i32_e32 v50, s45, v12
	v_and_b32_e32 v51, 3, v50
	v_bfe_u32 v50, v50, 2, 2
	v_lshlrev_b32_e32 v51, 1, v51
	buffer_store_dword v50, off, s[48:51], 0 offset:44 ; 4-byte Folded Spill
	v_lshlrev_b32_e32 v50, 3, v50
	buffer_store_dword v51, off, s[48:51], 0 offset:52 ; 4-byte Folded Spill
	v_add3_u32 v85, v60, v50, v51
	ds_read_u16 v50, v85
	s_waitcnt lgkmcnt(0)
	v_add_nc_u16 v50, v50, 1
	ds_write_b16 v85, v50
	v_ashrrev_i32_e32 v50, s45, v17
	v_and_b32_e32 v51, 3, v50
	v_bfe_u32 v50, v50, 2, 2
	v_lshlrev_b32_e32 v51, 1, v51
	buffer_store_dword v50, off, s[48:51], 0 offset:48 ; 4-byte Folded Spill
	v_lshlrev_b32_e32 v50, 3, v50
	buffer_store_dword v51, off, s[48:51], 0 offset:56 ; 4-byte Folded Spill
	v_add3_u32 v88, v60, v50, v51
	ds_read_u16 v50, v88
	s_waitcnt lgkmcnt(0)
	v_add_nc_u16 v50, v50, 1
	ds_write_b16 v88, v50
	v_ashrrev_i32_e32 v50, s45, v18
	v_and_b32_e32 v51, 3, v50
	v_bfe_u32 v50, v50, 2, 2
	v_lshlrev_b32_e32 v51, 1, v51
	buffer_store_dword v50, off, s[48:51], 0 offset:60 ; 4-byte Folded Spill
	v_lshlrev_b32_e32 v50, 3, v50
	buffer_store_dword v51, off, s[48:51], 0 offset:64 ; 4-byte Folded Spill
	v_add3_u32 v92, v60, v50, v51
	ds_read_u16 v50, v92
	s_waitcnt lgkmcnt(0)
	v_add_nc_u16 v50, v50, 1
	ds_write_b16 v92, v50
	v_ashrrev_i32_e32 v50, s45, v19
	v_and_b32_e32 v51, 3, v50
	v_bfe_u32 v50, v50, 2, 2
	v_lshlrev_b32_e32 v51, 1, v51
	buffer_store_dword v50, off, s[48:51], 0 offset:68 ; 4-byte Folded Spill
	v_lshlrev_b32_e32 v50, 3, v50
	buffer_store_dword v51, off, s[48:51], 0 offset:72 ; 4-byte Folded Spill
	v_add3_u32 v95, v60, v50, v51
	ds_read_u16 v50, v95
	s_waitcnt lgkmcnt(0)
	v_add_nc_u16 v50, v50, 1
	ds_write_b16 v95, v50
	v_ashrrev_i32_e32 v50, s45, v20
	v_and_b32_e32 v51, 3, v50
	v_bfe_u32 v50, v50, 2, 2
	v_lshlrev_b32_e32 v51, 1, v51
	buffer_store_dword v50, off, s[48:51], 0 offset:76 ; 4-byte Folded Spill
	v_lshlrev_b32_e32 v50, 3, v50
	buffer_store_dword v51, off, s[48:51], 0 offset:80 ; 4-byte Folded Spill
	v_add3_u32 v98, v60, v50, v51
	ds_read_u16 v50, v98
	s_waitcnt lgkmcnt(0)
	v_add_nc_u16 v50, v50, 1
	ds_write_b16 v98, v50
	v_ashrrev_i32_e32 v50, s45, v21
	v_and_b32_e32 v51, 3, v50
	v_bfe_u32 v50, v50, 2, 2
	v_lshlrev_b32_e32 v51, 1, v51
	buffer_store_dword v50, off, s[48:51], 0 offset:88 ; 4-byte Folded Spill
	v_lshlrev_b32_e32 v50, 3, v50
	buffer_store_dword v51, off, s[48:51], 0 offset:92 ; 4-byte Folded Spill
	v_add3_u32 v102, v60, v50, v51
	ds_read_u16 v50, v102
	s_waitcnt lgkmcnt(0)
	v_add_nc_u16 v50, v50, 1
	ds_write_b16 v102, v50
	v_ashrrev_i32_e32 v50, s45, v22
	v_and_b32_e32 v51, 3, v50
	v_bfe_u32 v101, v50, 2, 2
	v_lshlrev_b32_e32 v96, 1, v51
	v_lshlrev_b32_e32 v50, 3, v101
	v_add3_u32 v111, v60, v50, v96
	ds_read_u16 v50, v111
	s_waitcnt lgkmcnt(0)
	v_add_nc_u16 v50, v50, 1
	ds_write_b16 v111, v50
	v_ashrrev_i32_e32 v50, s45, v23
	v_and_b32_e32 v51, 3, v50
	v_bfe_u32 v124, v50, 2, 2
	v_lshlrev_b32_e32 v51, 1, v51
	v_lshlrev_b32_e32 v50, 3, v124
	;; [unrolled: 10-line block ×11, first 2 shown]
	v_add3_u32 v127, v60, v50, v91
	ds_read_u16 v50, v127
	s_waitcnt lgkmcnt(0)
	v_add_nc_u16 v50, v50, 1
	ds_write_b16 v127, v50
	s_waitcnt lgkmcnt(0)
	s_waitcnt_vscnt null, 0x0
	s_barrier
	buffer_gl0_inv
	s_branch .LBB1_55
.LBB1_54:                               ;   in Loop: Header=BB1_55 Depth=2
	s_or_b32 exec_lo, exec_lo, s30
	s_add_i32 s31, s31, 8
	s_cmp_eq_u32 s31, 32
	s_cbranch_scc1 .LBB1_85
.LBB1_55:                               ;   Parent Loop BB1_53 Depth=1
                                        ; =>  This Inner Loop Header: Depth=2
	v_add_nc_u32_e32 v93, s31, v60
	ds_read_b64 v[55:56], v93
	s_waitcnt lgkmcnt(0)
	ds_write_b64 v61, v[55:56]
	s_waitcnt lgkmcnt(0)
	s_barrier
	buffer_gl0_inv
	s_and_saveexec_b32 s33, s23
	s_cbranch_execz .LBB1_57
; %bb.56:                               ;   in Loop: Header=BB1_55 Depth=2
	v_add_nc_u32_e32 v50, v61, v59
	ds_read_b128 v[103:106], v50
	s_waitcnt lgkmcnt(0)
	v_add_co_u32 v55, s30, v105, v103
	v_add_co_ci_u32_e64 v56, null, v106, v104, s30
	ds_write_b64 v50, v[55:56] offset:8
.LBB1_57:                               ;   in Loop: Header=BB1_55 Depth=2
	s_or_b32 exec_lo, exec_lo, s33
	s_waitcnt lgkmcnt(0)
	s_barrier
	buffer_gl0_inv
	s_and_saveexec_b32 s33, s24
	s_cbranch_execz .LBB1_59
; %bb.58:                               ;   in Loop: Header=BB1_55 Depth=2
	ds_read_b64 v[55:56], v63 offset:28696
	ds_read_b64 v[103:104], v62 offset:28696
	s_waitcnt lgkmcnt(0)
	v_add_co_u32 v55, s30, v103, v55
	v_add_co_ci_u32_e64 v56, null, v104, v56, s30
	ds_write_b64 v62, v[55:56] offset:28696
.LBB1_59:                               ;   in Loop: Header=BB1_55 Depth=2
	s_or_b32 exec_lo, exec_lo, s33
	s_waitcnt lgkmcnt(0)
	s_barrier
	buffer_gl0_inv
	s_and_saveexec_b32 s33, s25
	s_cbranch_execz .LBB1_61
; %bb.60:                               ;   in Loop: Header=BB1_55 Depth=2
	ds_read_b64 v[55:56], v65 offset:28696
	ds_read_b64 v[103:104], v64 offset:28696
	s_waitcnt lgkmcnt(0)
	v_add_co_u32 v55, s30, v103, v55
	v_add_co_ci_u32_e64 v56, null, v104, v56, s30
	ds_write_b64 v64, v[55:56] offset:28696
.LBB1_61:                               ;   in Loop: Header=BB1_55 Depth=2
	;; [unrolled: 14-line block ×5, first 2 shown]
	s_or_b32 exec_lo, exec_lo, s33
	s_waitcnt lgkmcnt(0)
	s_barrier
	buffer_gl0_inv
	s_and_saveexec_b32 s33, s29
	s_cbranch_execz .LBB1_69
; %bb.68:                               ;   in Loop: Header=BB1_55 Depth=2
	v_add_nc_u32_e64 v50, 24, 0
	ds_read2st64_b64 v[103:106], v50 offset0:57 offset1:58
	s_waitcnt lgkmcnt(0)
	v_add_co_u32 v55, s30, v105, v103
	v_add_co_ci_u32_e64 v56, null, v106, v104, s30
	ds_write_b64 v49, v[55:56] offset:29720
.LBB1_69:                               ;   in Loop: Header=BB1_55 Depth=2
	s_or_b32 exec_lo, exec_lo, s33
	s_waitcnt lgkmcnt(0)
	s_barrier
	buffer_gl0_inv
	s_barrier
	buffer_gl0_inv
	s_and_saveexec_b32 s33, s29
	s_cbranch_execz .LBB1_71
; %bb.70:                               ;   in Loop: Header=BB1_55 Depth=2
	ds_read_b64 v[55:56], v49 offset:29720
	v_mov_b32_e32 v50, v49
	v_add_nc_u32_e64 v112, 24, 0
	s_waitcnt lgkmcnt(0)
	ds_write_b64 v49, v[55:56] offset:29728
	s_waitcnt lgkmcnt(0)
	buffer_gl0_inv
	ds_write_b64 v49, v[49:50] offset:29720
	s_waitcnt lgkmcnt(0)
	buffer_gl0_inv
	ds_read2st64_b64 v[103:106], v112 offset0:57 offset1:58
	s_waitcnt lgkmcnt(0)
	v_add_co_u32 v55, s30, v105, v103
	v_add_co_ci_u32_e64 v56, null, v106, v104, s30
	ds_write2st64_b64 v112, v[105:106], v[55:56] offset0:57 offset1:58
.LBB1_71:                               ;   in Loop: Header=BB1_55 Depth=2
	s_or_b32 exec_lo, exec_lo, s33
	s_waitcnt lgkmcnt(0)
	s_barrier
	buffer_gl0_inv
	s_and_saveexec_b32 s33, s28
	s_cbranch_execz .LBB1_73
; %bb.72:                               ;   in Loop: Header=BB1_55 Depth=2
	ds_read_b64 v[55:56], v71 offset:28696
	ds_read_b64 v[103:104], v70 offset:28696
	s_waitcnt lgkmcnt(0)
	v_add_co_u32 v55, s30, v103, v55
	v_add_co_ci_u32_e64 v56, null, v104, v56, s30
	ds_write_b64 v71, v[103:104] offset:28696
	ds_write_b64 v70, v[55:56] offset:28696
.LBB1_73:                               ;   in Loop: Header=BB1_55 Depth=2
	s_or_b32 exec_lo, exec_lo, s33
	s_waitcnt lgkmcnt(0)
	s_barrier
	buffer_gl0_inv
	s_and_saveexec_b32 s33, s27
	s_cbranch_execz .LBB1_75
; %bb.74:                               ;   in Loop: Header=BB1_55 Depth=2
	ds_read_b64 v[55:56], v69 offset:28696
	ds_read_b64 v[103:104], v68 offset:28696
	s_waitcnt lgkmcnt(0)
	v_add_co_u32 v55, s30, v103, v55
	v_add_co_ci_u32_e64 v56, null, v104, v56, s30
	ds_write_b64 v69, v[103:104] offset:28696
	ds_write_b64 v68, v[55:56] offset:28696
.LBB1_75:                               ;   in Loop: Header=BB1_55 Depth=2
	;; [unrolled: 15-line block ×5, first 2 shown]
	s_or_b32 exec_lo, exec_lo, s33
	s_waitcnt lgkmcnt(0)
	s_barrier
	buffer_gl0_inv
	s_and_saveexec_b32 s33, s23
	s_cbranch_execz .LBB1_83
; %bb.82:                               ;   in Loop: Header=BB1_55 Depth=2
	v_add_nc_u32_e32 v50, v61, v59
	ds_read_b128 v[103:106], v50
	s_waitcnt lgkmcnt(0)
	v_add_co_u32 v114, s30, v105, v103
	v_add_co_ci_u32_e64 v115, null, v106, v104, s30
	v_mov_b32_e32 v112, v105
	v_mov_b32_e32 v113, v106
	ds_write_b128 v50, v[112:115]
.LBB1_83:                               ;   in Loop: Header=BB1_55 Depth=2
	s_or_b32 exec_lo, exec_lo, s33
	s_waitcnt lgkmcnt(0)
	s_barrier
	buffer_gl0_inv
	s_barrier
	buffer_gl0_inv
	ds_read_b64 v[55:56], v49 offset:29728
	s_waitcnt lgkmcnt(0)
	s_barrier
	buffer_gl0_inv
	ds_read_b64 v[103:104], v61
	s_waitcnt lgkmcnt(0)
	ds_write_b64 v93, v[103:104]
	s_and_saveexec_b32 s30, s29
	s_cbranch_execz .LBB1_54
; %bb.84:                               ;   in Loop: Header=BB1_55 Depth=2
	v_mov_b32_e32 v50, s31
	ds_write_b64 v50, v[55:56] offset:28672
	s_branch .LBB1_54
.LBB1_85:                               ;   in Loop: Header=BB1_53 Depth=1
	s_waitcnt lgkmcnt(0)
	s_barrier
	buffer_gl0_inv
	s_and_saveexec_b32 s30, s26
	s_cbranch_execz .LBB1_87
; %bb.86:                               ;   in Loop: Header=BB1_53 Depth=1
	buffer_load_dword v56, off, s[48:51], 0 offset:16 ; 4-byte Folded Reload
	s_waitcnt vmcnt(0)
	ds_read_b32 v50, v56 offset:4096
	s_waitcnt lgkmcnt(0)
	v_lshrrev_b32_e32 v55, 16, v50
	v_add_nc_u16 v50, v55, v50
	ds_write_b16 v56, v50 offset:4098
.LBB1_87:                               ;   in Loop: Header=BB1_53 Depth=1
	s_or_b32 exec_lo, exec_lo, s30
	s_waitcnt lgkmcnt(0)
	s_barrier
	buffer_gl0_inv
	s_and_saveexec_b32 s30, s27
	s_cbranch_execz .LBB1_89
; %bb.88:                               ;   in Loop: Header=BB1_53 Depth=1
	s_clause 0x1
	buffer_load_dword v50, off, s[48:51], 0
	buffer_load_dword v56, off, s[48:51], 0 offset:4
	s_waitcnt vmcnt(1)
	ds_read_u16 v50, v50 offset:28670
	s_waitcnt vmcnt(0)
	ds_read_u16 v55, v56 offset:28670
	s_waitcnt lgkmcnt(0)
	v_add_nc_u16 v50, v55, v50
	ds_write_b16 v56, v50 offset:28670
.LBB1_89:                               ;   in Loop: Header=BB1_53 Depth=1
	s_or_b32 exec_lo, exec_lo, s30
	s_waitcnt lgkmcnt(0)
	s_barrier
	buffer_gl0_inv
	s_and_saveexec_b32 s30, s28
	s_cbranch_execz .LBB1_91
; %bb.90:                               ;   in Loop: Header=BB1_53 Depth=1
	s_clause 0x1
	buffer_load_dword v50, off, s[48:51], 0 offset:8
	buffer_load_dword v56, off, s[48:51], 0 offset:12
	s_waitcnt vmcnt(1)
	ds_read_u16 v50, v50 offset:28670
	s_waitcnt vmcnt(0)
	ds_read_u16 v55, v56 offset:28670
	s_waitcnt lgkmcnt(0)
	v_add_nc_u16 v50, v55, v50
	ds_write_b16 v56, v50 offset:28670
.LBB1_91:                               ;   in Loop: Header=BB1_53 Depth=1
	s_or_b32 exec_lo, exec_lo, s30
	s_waitcnt lgkmcnt(0)
	s_barrier
	buffer_gl0_inv
	s_and_saveexec_b32 s30, s29
	s_cbranch_execz .LBB1_93
; %bb.92:                               ;   in Loop: Header=BB1_53 Depth=1
	ds_read_u16 v50, v49 offset:28686
	ds_read_u16 v55, v49 offset:28702
	s_waitcnt lgkmcnt(0)
	v_add_nc_u32_e32 v50, v55, v50
	ds_write_b16 v49, v50 offset:28702
.LBB1_93:                               ;   in Loop: Header=BB1_53 Depth=1
	s_or_b32 exec_lo, exec_lo, s30
	s_waitcnt lgkmcnt(0)
	s_barrier
	buffer_gl0_inv
	s_barrier
	buffer_gl0_inv
	s_and_saveexec_b32 s30, s29
	s_cbranch_execz .LBB1_95
; %bb.94:                               ;   in Loop: Header=BB1_53 Depth=1
	ds_read_u16 v50, v49 offset:28702
	s_waitcnt lgkmcnt(0)
	ds_write_b16 v49, v50 offset:29736
	s_waitcnt lgkmcnt(0)
	buffer_gl0_inv
	ds_write_b16 v49, v49 offset:28702
	s_waitcnt lgkmcnt(0)
	buffer_gl0_inv
	ds_read_u16 v50, v49 offset:28686
	ds_read_u16 v55, v49 offset:28702
	s_waitcnt lgkmcnt(0)
	v_add_nc_u32_e32 v50, v55, v50
	ds_write_b16 v49, v55 offset:28686
	ds_write_b16 v49, v50 offset:28702
.LBB1_95:                               ;   in Loop: Header=BB1_53 Depth=1
	s_or_b32 exec_lo, exec_lo, s30
	s_waitcnt lgkmcnt(0)
	s_barrier
	buffer_gl0_inv
	s_and_saveexec_b32 s30, s28
	s_cbranch_execz .LBB1_97
; %bb.96:                               ;   in Loop: Header=BB1_53 Depth=1
	s_clause 0x1
	buffer_load_dword v56, off, s[48:51], 0 offset:8
	buffer_load_dword v93, off, s[48:51], 0 offset:12
	s_waitcnt vmcnt(1)
	ds_read_u16 v50, v56 offset:28670
	s_waitcnt vmcnt(0)
	ds_read_u16 v55, v93 offset:28670
	s_waitcnt lgkmcnt(0)
	v_add_nc_u16 v50, v55, v50
	ds_write_b16 v56, v55 offset:28670
	ds_write_b16 v93, v50 offset:28670
.LBB1_97:                               ;   in Loop: Header=BB1_53 Depth=1
	s_or_b32 exec_lo, exec_lo, s30
	s_waitcnt lgkmcnt(0)
	s_barrier
	buffer_gl0_inv
	s_and_saveexec_b32 s30, s27
	s_cbranch_execz .LBB1_99
; %bb.98:                               ;   in Loop: Header=BB1_53 Depth=1
	s_clause 0x1
	buffer_load_dword v56, off, s[48:51], 0
	buffer_load_dword v93, off, s[48:51], 0 offset:4
	s_waitcnt vmcnt(1)
	ds_read_u16 v50, v56 offset:28670
	s_waitcnt vmcnt(0)
	ds_read_u16 v55, v93 offset:28670
	s_waitcnt lgkmcnt(0)
	v_add_nc_u16 v50, v55, v50
	ds_write_b16 v56, v55 offset:28670
	ds_write_b16 v93, v50 offset:28670
.LBB1_99:                               ;   in Loop: Header=BB1_53 Depth=1
	s_or_b32 exec_lo, exec_lo, s30
	s_waitcnt lgkmcnt(0)
	s_barrier
	buffer_gl0_inv
	s_and_saveexec_b32 s30, s26
	s_cbranch_execz .LBB1_101
; %bb.100:                              ;   in Loop: Header=BB1_53 Depth=1
	buffer_load_dword v56, off, s[48:51], 0 offset:16 ; 4-byte Folded Reload
	s_waitcnt vmcnt(0)
	ds_read_b32 v50, v56 offset:4096
	s_waitcnt lgkmcnt(0)
	v_lshrrev_b32_e32 v55, 16, v50
	v_add_nc_u16 v55, v55, v50
	v_alignbit_b32 v50, v55, v50, 16
	ds_write_b32 v56, v50 offset:4096
.LBB1_101:                              ;   in Loop: Header=BB1_53 Depth=1
	s_or_b32 exec_lo, exec_lo, s30
	buffer_load_dword v50, off, s[48:51], 0 offset:84 ; 4-byte Folded Reload
	s_waitcnt vmcnt(0) lgkmcnt(0)
	s_barrier
	buffer_gl0_inv
	s_barrier
	buffer_gl0_inv
	;; [unrolled: 2-line block ×3, first 2 shown]
	v_lshl_or_b32 v94, v94, 3, v97
	s_add_i32 s30, s45, 4
	s_mov_b32 s34, 0
	s_mov_b32 s36, s34
	s_mov_b32 s35, s34
	s_mov_b32 s37, s34
	v_lshl_or_b32 v50, v50, 3, v100
	ds_read_u16 v50, v50 offset:28672
	ds_read_u16 v55, v99
	s_waitcnt lgkmcnt(0)
	v_add_nc_u16 v56, v55, 1
	v_and_b32_e32 v55, 0xffff, v55
	ds_write_b16 v99, v56
	v_lshl_or_b32 v56, v108, 3, v109
	v_add_lshl_u32 v50, v55, v50, 2
	ds_read_u16 v56, v56 offset:28672
	ds_read_u16 v93, v107
	s_waitcnt lgkmcnt(0)
	v_add_nc_u16 v99, v93, 1
	v_and_b32_e32 v55, 0xffff, v93
	ds_write_b16 v107, v99
	ds_read_u16 v94, v94 offset:28672
	ds_read_u16 v97, v110
	v_add_lshl_u32 v55, v55, v56, 2
	s_waitcnt lgkmcnt(0)
	v_add_nc_u16 v99, v97, 1
	v_and_b32_e32 v56, 0xffff, v97
	ds_write_b16 v110, v99
	v_lshl_or_b32 v99, v117, 3, v118
	v_add_lshl_u32 v56, v56, v94, 2
	ds_read_u16 v93, v99 offset:28672
	ds_read_u16 v94, v0
	s_waitcnt lgkmcnt(0)
	v_and_b32_e32 v97, 0xffff, v94
	v_add_lshl_u32 v93, v97, v93, 2
	ds_write2st64_b32 v50, v1, v5 offset1:48
	ds_write2st64_b32 v55, v2, v6 offset1:48
	;; [unrolled: 1-line block ×4, first 2 shown]
	v_add_nc_u16 v1, v94, 1
	ds_write_b16 v0, v1
	s_clause 0x1
	buffer_load_dword v0, off, s[48:51], 0 offset:20
	buffer_load_dword v1, off, s[48:51], 0 offset:24
	s_waitcnt vmcnt(0)
	v_lshl_or_b32 v0, v0, 3, v1
	ds_read_u16 v0, v0 offset:28672
	ds_read_u16 v1, v77
	s_waitcnt lgkmcnt(0)
	v_add_nc_u16 v2, v1, 1
	v_and_b32_e32 v1, 0xffff, v1
	ds_write_b16 v77, v2
	s_clause 0x1
	buffer_load_dword v2, off, s[48:51], 0 offset:28
	buffer_load_dword v3, off, s[48:51], 0 offset:32
	v_add_lshl_u32 v0, v1, v0, 2
	s_waitcnt vmcnt(0)
	v_lshl_or_b32 v2, v2, 3, v3
	ds_read_u16 v2, v2 offset:28672
	ds_read_u16 v3, v80
	s_waitcnt lgkmcnt(0)
	v_add_nc_u16 v4, v3, 1
	v_and_b32_e32 v1, 0xffff, v3
	ds_write_b16 v80, v4
	s_clause 0x1
	buffer_load_dword v4, off, s[48:51], 0 offset:36
	buffer_load_dword v5, off, s[48:51], 0 offset:40
	v_add_lshl_u32 v1, v1, v2, 2
	;; [unrolled: 12-line block ×3, first 2 shown]
	s_waitcnt vmcnt(0)
	v_lshl_or_b32 v6, v6, 3, v7
	ds_read_u16 v3, v6 offset:28672
	ds_read_u16 v4, v85
	s_waitcnt lgkmcnt(0)
	v_and_b32_e32 v5, 0xffff, v4
	v_add_lshl_u32 v3, v5, v3, 2
	ds_write2st64_b32 v0, v9, v13 offset1:48
	ds_write2st64_b32 v1, v10, v14 offset1:48
	;; [unrolled: 1-line block ×4, first 2 shown]
	v_add_nc_u16 v0, v4, 1
	ds_write_b16 v85, v0
	s_clause 0x1
	buffer_load_dword v0, off, s[48:51], 0 offset:48
	buffer_load_dword v1, off, s[48:51], 0 offset:56
	s_waitcnt vmcnt(0)
	v_lshl_or_b32 v0, v0, 3, v1
	ds_read_u16 v0, v0 offset:28672
	ds_read_u16 v1, v88
	s_waitcnt lgkmcnt(0)
	v_add_nc_u16 v2, v1, 1
	v_and_b32_e32 v1, 0xffff, v1
	ds_write_b16 v88, v2
	s_clause 0x1
	buffer_load_dword v2, off, s[48:51], 0 offset:60
	buffer_load_dword v3, off, s[48:51], 0 offset:64
	v_add_lshl_u32 v0, v1, v0, 2
	s_waitcnt vmcnt(0)
	v_lshl_or_b32 v2, v2, 3, v3
	ds_read_u16 v2, v2 offset:28672
	ds_read_u16 v3, v92
	s_waitcnt lgkmcnt(0)
	v_add_nc_u16 v4, v3, 1
	v_and_b32_e32 v1, 0xffff, v3
	ds_write_b16 v92, v4
	s_clause 0x1
	buffer_load_dword v4, off, s[48:51], 0 offset:68
	buffer_load_dword v5, off, s[48:51], 0 offset:72
	v_add_lshl_u32 v1, v1, v2, 2
	;; [unrolled: 12-line block ×3, first 2 shown]
	s_waitcnt vmcnt(0)
	v_lshl_or_b32 v6, v6, 3, v7
	ds_read_u16 v3, v6 offset:28672
	ds_read_u16 v4, v98
	v_lshl_or_b32 v7, v87, 3, v91
	s_waitcnt lgkmcnt(0)
	v_and_b32_e32 v5, 0xffff, v4
	v_add_lshl_u32 v3, v5, v3, 2
	ds_write2st64_b32 v0, v17, v25 offset1:48
	ds_write2st64_b32 v1, v18, v26 offset1:48
	ds_write2st64_b32 v2, v19, v27 offset1:48
	ds_write2st64_b32 v3, v20, v28 offset1:48
	v_add_nc_u16 v0, v4, 1
	ds_write_b16 v98, v0
	s_clause 0x1
	buffer_load_dword v0, off, s[48:51], 0 offset:88
	buffer_load_dword v1, off, s[48:51], 0 offset:92
	s_waitcnt vmcnt(0)
	v_lshl_or_b32 v0, v0, 3, v1
	ds_read_u16 v0, v0 offset:28672
	ds_read_u16 v1, v102
	s_waitcnt lgkmcnt(0)
	v_add_nc_u16 v2, v1, 1
	v_and_b32_e32 v1, 0xffff, v1
	ds_write_b16 v102, v2
	v_lshl_or_b32 v2, v101, 3, v96
	ds_read_u16 v2, v2 offset:28672
	ds_read_u16 v3, v111
	v_add_lshl_u32 v0, v1, v0, 2
	s_waitcnt lgkmcnt(0)
	v_add_nc_u16 v4, v3, 1
	v_and_b32_e32 v1, 0xffff, v3
	ds_write_b16 v111, v4
	v_lshl_or_b32 v4, v124, 3, v51
	ds_read_u16 v4, v4 offset:28672
	ds_read_u16 v5, v123
	v_add_lshl_u32 v1, v1, v2, 2
	s_waitcnt lgkmcnt(0)
	v_add_nc_u16 v6, v5, 1
	v_and_b32_e32 v2, 0xffff, v5
	ds_write_b16 v123, v6
	v_lshl_or_b32 v6, v86, 3, v90
	v_add_lshl_u32 v2, v2, v4, 2
	ds_read_u16 v3, v6 offset:28672
	ds_read_u16 v4, v116
	s_waitcnt lgkmcnt(0)
	v_and_b32_e32 v5, 0xffff, v4
	v_add_lshl_u32 v3, v5, v3, 2
	ds_write2st64_b32 v0, v21, v29 offset1:48
	ds_write2st64_b32 v1, v22, v30 offset1:48
	;; [unrolled: 1-line block ×4, first 2 shown]
	v_add_nc_u16 v0, v4, 1
	ds_write_b16 v116, v0
	v_lshl_or_b32 v0, v119, 3, v122
	ds_read_u16 v0, v0 offset:28672
	ds_read_u16 v1, v120
	s_waitcnt lgkmcnt(0)
	v_add_nc_u16 v2, v1, 1
	v_and_b32_e32 v1, 0xffff, v1
	ds_write_b16 v120, v2
	v_lshl_or_b32 v2, v52, 3, v74
	ds_read_u16 v2, v2 offset:28672
	ds_read_u16 v3, v53
	v_add_lshl_u32 v0, v1, v0, 2
	s_waitcnt lgkmcnt(0)
	v_add_nc_u16 v4, v3, 1
	v_and_b32_e32 v1, 0xffff, v3
	ds_write_b16 v53, v4
	v_lshl_or_b32 v4, v58, 3, v81
	ds_read_u16 v4, v4 offset:28672
	ds_read_u16 v5, v78
	v_add_lshl_u32 v1, v1, v2, 2
	s_waitcnt lgkmcnt(0)
	v_add_nc_u16 v6, v5, 1
	v_and_b32_e32 v2, 0xffff, v5
	ds_write_b16 v78, v6
	v_lshl_or_b32 v6, v84, 3, v89
	v_add_lshl_u32 v2, v2, v4, 2
	ds_read_u16 v3, v6 offset:28672
	ds_read_u16 v4, v121
	s_waitcnt lgkmcnt(0)
	v_and_b32_e32 v5, 0xffff, v4
	v_add_lshl_u32 v3, v5, v3, 2
	ds_write2st64_b32 v0, v33, v37 offset1:48
	ds_write2st64_b32 v1, v34, v38 offset1:48
	ds_write2st64_b32 v2, v35, v39 offset1:48
	ds_write2st64_b32 v3, v36, v40 offset1:48
	v_add_nc_u16 v0, v4, 1
	v_lshl_or_b32 v1, v125, 3, v54
	v_lshl_or_b32 v3, v72, 3, v75
	;; [unrolled: 1-line block ×3, first 2 shown]
	ds_write_b16 v121, v0
	ds_read_u16 v0, v126
	ds_read_u16 v1, v1 offset:28672
	s_waitcnt lgkmcnt(1)
	v_add_nc_u16 v2, v0, 1
	v_and_b32_e32 v0, 0xffff, v0
	ds_write_b16 v126, v2
	ds_read_u16 v2, v73
	ds_read_u16 v3, v3 offset:28672
	s_waitcnt lgkmcnt(3)
	v_add_lshl_u32 v0, v0, v1, 2
	s_waitcnt lgkmcnt(1)
	v_add_nc_u16 v4, v2, 1
	v_and_b32_e32 v2, 0xffff, v2
	ds_write_b16 v73, v4
	ds_read_u16 v4, v76
	ds_read_u16 v5, v5 offset:28672
	s_waitcnt lgkmcnt(3)
	v_add_lshl_u32 v1, v2, v3, 2
	;; [unrolled: 8-line block ×3, first 2 shown]
	s_waitcnt lgkmcnt(1)
	v_and_b32_e32 v8, 0xffff, v6
	v_add_nc_u16 v3, v6, 1
	s_waitcnt lgkmcnt(0)
	v_add_lshl_u32 v4, v8, v7, 2
	ds_write2st64_b32 v0, v41, v45 offset1:48
	ds_write2st64_b32 v1, v42, v46 offset1:48
	;; [unrolled: 1-line block ×3, first 2 shown]
	ds_write_b16 v127, v3
	ds_write2st64_b32 v4, v44, v48 offset1:48
	s_waitcnt lgkmcnt(0)
	s_barrier
	buffer_gl0_inv
	ds_read_b128 v[28:31], v57
	v_mov_b32_e32 v2, s36
	v_mov_b32_e32 v3, s37
	s_waitcnt lgkmcnt(0)
	v_ashrrev_i32_e32 v0, s30, v28
	v_bfe_u32 v1, v0, 2, 2
	v_and_b32_e32 v0, 3, v0
	v_lshlrev_b32_e32 v4, 3, v1
	v_lshlrev_b32_e32 v5, 1, v0
	buffer_store_dword v1, off, s[48:51], 0 offset:28 ; 4-byte Folded Spill
	v_mov_b32_e32 v0, s34
	v_mov_b32_e32 v1, s35
	v_add3_u32 v77, v60, v4, v5
	buffer_store_dword v5, off, s[48:51], 0 offset:32 ; 4-byte Folded Spill
	ds_write2_b64 v60, v[0:1], v[2:3] offset1:1
	ds_write2_b64 v60, v[0:1], v[2:3] offset0:2 offset1:3
	v_ashrrev_i32_e32 v1, s30, v29
	ds_read_u16 v0, v77
	ds_read_b128 v[24:27], v57 offset:16
	ds_read_b128 v[20:23], v57 offset:32
	v_bfe_u32 v2, v1, 2, 2
	v_and_b32_e32 v1, 3, v1
	buffer_store_dword v2, off, s[48:51], 0 offset:20 ; 4-byte Folded Spill
	v_lshlrev_b32_e32 v2, 3, v2
	v_lshlrev_b32_e32 v1, 1, v1
	v_add3_u32 v83, v60, v2, v1
	buffer_store_dword v1, off, s[48:51], 0 offset:24 ; 4-byte Folded Spill
	v_ashrrev_i32_e32 v1, s30, v30
	s_waitcnt lgkmcnt(2)
	v_add_nc_u16 v0, v0, 1
	v_bfe_u32 v2, v1, 2, 2
	v_and_b32_e32 v1, 3, v1
	ds_write_b16 v77, v0
	ds_read_u16 v0, v83
	buffer_store_dword v2, off, s[48:51], 0 offset:36 ; 4-byte Folded Spill
	v_lshlrev_b32_e32 v2, 3, v2
	v_lshlrev_b32_e32 v1, 1, v1
	v_add3_u32 v103, v60, v2, v1
	buffer_store_dword v1, off, s[48:51], 0 offset:40 ; 4-byte Folded Spill
	s_waitcnt lgkmcnt(0)
	v_add_nc_u16 v0, v0, 1
	ds_write_b16 v83, v0
	ds_read_u16 v0, v103
	ds_read_b128 v[8:11], v57 offset:48
	s_waitcnt lgkmcnt(1)
	v_add_nc_u16 v0, v0, 1
	ds_write_b16 v103, v0
	v_ashrrev_i32_e32 v0, s30, v31
	v_and_b32_e32 v1, 3, v0
	v_bfe_u32 v95, v0, 2, 2
	v_lshlrev_b32_e32 v97, 1, v1
	v_lshlrev_b32_e32 v0, 3, v95
	v_add3_u32 v51, v60, v0, v97
	ds_read_u16 v4, v51
	ds_read_b128 v[0:3], v57 offset:64
	s_waitcnt lgkmcnt(1)
	v_add_nc_u16 v4, v4, 1
	ds_write_b16 v51, v4
	v_ashrrev_i32_e32 v4, s30, v24
	v_and_b32_e32 v5, 3, v4
	v_bfe_u32 v100, v4, 2, 2
	v_lshlrev_b32_e32 v102, 1, v5
	v_lshlrev_b32_e32 v4, 3, v100
	v_add3_u32 v118, v60, v4, v102
	;; [unrolled: 11-line block ×3, first 2 shown]
	ds_read_u16 v12, v85
	s_waitcnt lgkmcnt(0)
	v_add_nc_u16 v12, v12, 1
	ds_write_b16 v85, v12
	v_ashrrev_i32_e32 v12, s30, v26
	v_and_b32_e32 v13, 3, v12
	v_bfe_u32 v84, v12, 2, 2
	v_lshlrev_b32_e32 v86, 1, v13
	v_lshlrev_b32_e32 v12, 3, v84
	v_add3_u32 v81, v60, v12, v86
	ds_read_u16 v12, v81
	s_waitcnt lgkmcnt(0)
	v_add_nc_u16 v12, v12, 1
	ds_write_b16 v81, v12
	v_ashrrev_i32_e32 v12, s30, v27
	v_and_b32_e32 v13, 3, v12
	v_bfe_u32 v80, v12, 2, 2
	v_lshlrev_b32_e32 v82, 1, v13
	v_lshlrev_b32_e32 v12, 3, v80
	v_add3_u32 v127, v60, v12, v82
	;; [unrolled: 10-line block ×11, first 2 shown]
	ds_read_u16 v12, v105
	s_waitcnt lgkmcnt(0)
	v_add_nc_u16 v12, v12, 1
	ds_write_b16 v105, v12
	v_ashrrev_i32_e32 v12, s30, v1
	v_and_b32_e32 v13, 3, v12
	v_bfe_u32 v12, v12, 2, 2
	v_lshlrev_b32_e32 v106, 1, v13
	buffer_store_dword v12, off, s[48:51], 0 offset:92 ; 4-byte Folded Spill
	v_lshlrev_b32_e32 v12, 3, v12
	v_add3_u32 v101, v60, v12, v106
	ds_read_u16 v12, v101
	s_waitcnt lgkmcnt(0)
	v_add_nc_u16 v12, v12, 1
	ds_write_b16 v101, v12
	v_ashrrev_i32_e32 v12, s30, v2
	v_and_b32_e32 v13, 3, v12
	v_bfe_u32 v12, v12, 2, 2
	v_lshlrev_b32_e32 v13, 1, v13
	buffer_store_dword v12, off, s[48:51], 0 offset:84 ; 4-byte Folded Spill
	v_lshlrev_b32_e32 v12, 3, v12
	buffer_store_dword v13, off, s[48:51], 0 offset:88 ; 4-byte Folded Spill
	v_add3_u32 v98, v60, v12, v13
	ds_read_u16 v12, v98
	s_waitcnt lgkmcnt(0)
	v_add_nc_u16 v12, v12, 1
	ds_write_b16 v98, v12
	v_ashrrev_i32_e32 v12, s30, v3
	v_and_b32_e32 v13, 3, v12
	v_bfe_u32 v12, v12, 2, 2
	v_lshlrev_b32_e32 v13, 1, v13
	buffer_store_dword v12, off, s[48:51], 0 offset:76 ; 4-byte Folded Spill
	v_lshlrev_b32_e32 v12, 3, v12
	buffer_store_dword v13, off, s[48:51], 0 offset:80 ; 4-byte Folded Spill
	;; [unrolled: 12-line block ×6, first 2 shown]
	v_add3_u32 v48, v60, v12, v13
	ds_read_u16 v12, v48
	s_waitcnt lgkmcnt(0)
	v_add_nc_u16 v12, v12, 1
	ds_write_b16 v48, v12
	v_add_nc_u32_e32 v12, 0x3000, v57
	ds_read_b128 v[44:47], v12
	ds_read_b128 v[40:43], v12 offset:16
	ds_read_b128 v[36:39], v12 offset:32
	;; [unrolled: 1-line block ×5, first 2 shown]
	s_waitcnt lgkmcnt(0)
	s_waitcnt_vscnt null, 0x0
	s_barrier
	buffer_gl0_inv
	s_branch .LBB1_103
.LBB1_102:                              ;   in Loop: Header=BB1_103 Depth=2
	s_or_b32 exec_lo, exec_lo, s30
	s_add_i32 s34, s34, 8
	s_cmp_eq_u32 s34, 32
	s_cbranch_scc1 .LBB1_133
.LBB1_103:                              ;   Parent Loop BB1_53 Depth=1
                                        ; =>  This Inner Loop Header: Depth=2
	v_add_nc_u32_e32 v92, s34, v60
	ds_read_b64 v[55:56], v92
	s_waitcnt lgkmcnt(0)
	ds_write_b64 v61, v[55:56]
	s_waitcnt lgkmcnt(0)
	s_barrier
	buffer_gl0_inv
	s_and_saveexec_b32 s31, s23
	s_cbranch_execz .LBB1_105
; %bb.104:                              ;   in Loop: Header=BB1_103 Depth=2
	v_add_nc_u32_e32 v50, v61, v59
	ds_read_b128 v[111:114], v50
	s_waitcnt lgkmcnt(0)
	v_add_co_u32 v55, s30, v113, v111
	v_add_co_ci_u32_e64 v56, null, v114, v112, s30
	ds_write_b64 v50, v[55:56] offset:8
.LBB1_105:                              ;   in Loop: Header=BB1_103 Depth=2
	s_or_b32 exec_lo, exec_lo, s31
	s_waitcnt lgkmcnt(0)
	s_barrier
	buffer_gl0_inv
	s_and_saveexec_b32 s31, s24
	s_cbranch_execz .LBB1_107
; %bb.106:                              ;   in Loop: Header=BB1_103 Depth=2
	ds_read_b64 v[55:56], v63 offset:28696
	ds_read_b64 v[111:112], v62 offset:28696
	s_waitcnt lgkmcnt(0)
	v_add_co_u32 v55, s30, v111, v55
	v_add_co_ci_u32_e64 v56, null, v112, v56, s30
	ds_write_b64 v62, v[55:56] offset:28696
.LBB1_107:                              ;   in Loop: Header=BB1_103 Depth=2
	s_or_b32 exec_lo, exec_lo, s31
	s_waitcnt lgkmcnt(0)
	s_barrier
	buffer_gl0_inv
	s_and_saveexec_b32 s31, s25
	s_cbranch_execz .LBB1_109
; %bb.108:                              ;   in Loop: Header=BB1_103 Depth=2
	ds_read_b64 v[55:56], v65 offset:28696
	ds_read_b64 v[111:112], v64 offset:28696
	s_waitcnt lgkmcnt(0)
	v_add_co_u32 v55, s30, v111, v55
	v_add_co_ci_u32_e64 v56, null, v112, v56, s30
	ds_write_b64 v64, v[55:56] offset:28696
.LBB1_109:                              ;   in Loop: Header=BB1_103 Depth=2
	;; [unrolled: 14-line block ×5, first 2 shown]
	s_or_b32 exec_lo, exec_lo, s31
	s_waitcnt lgkmcnt(0)
	s_barrier
	buffer_gl0_inv
	s_and_saveexec_b32 s31, s29
	s_cbranch_execz .LBB1_117
; %bb.116:                              ;   in Loop: Header=BB1_103 Depth=2
	v_add_nc_u32_e64 v50, 24, 0
	ds_read2st64_b64 v[111:114], v50 offset0:57 offset1:58
	s_waitcnt lgkmcnt(0)
	v_add_co_u32 v55, s30, v113, v111
	v_add_co_ci_u32_e64 v56, null, v114, v112, s30
	ds_write_b64 v49, v[55:56] offset:29720
.LBB1_117:                              ;   in Loop: Header=BB1_103 Depth=2
	s_or_b32 exec_lo, exec_lo, s31
	s_waitcnt lgkmcnt(0)
	s_barrier
	buffer_gl0_inv
	s_barrier
	buffer_gl0_inv
	s_and_saveexec_b32 s31, s29
	s_cbranch_execz .LBB1_119
; %bb.118:                              ;   in Loop: Header=BB1_103 Depth=2
	ds_read_b64 v[55:56], v49 offset:29720
	v_mov_b32_e32 v50, v49
	v_add_nc_u32_e64 v121, 24, 0
	s_waitcnt lgkmcnt(0)
	ds_write_b64 v49, v[55:56] offset:29728
	s_waitcnt lgkmcnt(0)
	buffer_gl0_inv
	ds_write_b64 v49, v[49:50] offset:29720
	s_waitcnt lgkmcnt(0)
	buffer_gl0_inv
	ds_read2st64_b64 v[111:114], v121 offset0:57 offset1:58
	s_waitcnt lgkmcnt(0)
	v_add_co_u32 v55, s30, v113, v111
	v_add_co_ci_u32_e64 v56, null, v114, v112, s30
	ds_write2st64_b64 v121, v[113:114], v[55:56] offset0:57 offset1:58
.LBB1_119:                              ;   in Loop: Header=BB1_103 Depth=2
	s_or_b32 exec_lo, exec_lo, s31
	s_waitcnt lgkmcnt(0)
	s_barrier
	buffer_gl0_inv
	s_and_saveexec_b32 s31, s28
	s_cbranch_execz .LBB1_121
; %bb.120:                              ;   in Loop: Header=BB1_103 Depth=2
	ds_read_b64 v[55:56], v71 offset:28696
	ds_read_b64 v[111:112], v70 offset:28696
	s_waitcnt lgkmcnt(0)
	v_add_co_u32 v55, s30, v111, v55
	v_add_co_ci_u32_e64 v56, null, v112, v56, s30
	ds_write_b64 v71, v[111:112] offset:28696
	ds_write_b64 v70, v[55:56] offset:28696
.LBB1_121:                              ;   in Loop: Header=BB1_103 Depth=2
	s_or_b32 exec_lo, exec_lo, s31
	s_waitcnt lgkmcnt(0)
	s_barrier
	buffer_gl0_inv
	s_and_saveexec_b32 s31, s27
	s_cbranch_execz .LBB1_123
; %bb.122:                              ;   in Loop: Header=BB1_103 Depth=2
	ds_read_b64 v[55:56], v69 offset:28696
	ds_read_b64 v[111:112], v68 offset:28696
	s_waitcnt lgkmcnt(0)
	v_add_co_u32 v55, s30, v111, v55
	v_add_co_ci_u32_e64 v56, null, v112, v56, s30
	ds_write_b64 v69, v[111:112] offset:28696
	ds_write_b64 v68, v[55:56] offset:28696
.LBB1_123:                              ;   in Loop: Header=BB1_103 Depth=2
	s_or_b32 exec_lo, exec_lo, s31
	s_waitcnt lgkmcnt(0)
	s_barrier
	buffer_gl0_inv
	s_and_saveexec_b32 s31, s26
	s_cbranch_execz .LBB1_125
; %bb.124:                              ;   in Loop: Header=BB1_103 Depth=2
	ds_read_b64 v[55:56], v67 offset:28696
	ds_read_b64 v[111:112], v66 offset:28696
	s_waitcnt lgkmcnt(0)
	v_add_co_u32 v55, s30, v111, v55
	v_add_co_ci_u32_e64 v56, null, v112, v56, s30
	ds_write_b64 v67, v[111:112] offset:28696
	ds_write_b64 v66, v[55:56] offset:28696
.LBB1_125:                              ;   in Loop: Header=BB1_103 Depth=2
	s_or_b32 exec_lo, exec_lo, s31
	s_waitcnt lgkmcnt(0)
	s_barrier
	buffer_gl0_inv
	s_and_saveexec_b32 s31, s25
	s_cbranch_execz .LBB1_127
; %bb.126:                              ;   in Loop: Header=BB1_103 Depth=2
	ds_read_b64 v[55:56], v65 offset:28696
	ds_read_b64 v[111:112], v64 offset:28696
	s_waitcnt lgkmcnt(0)
	v_add_co_u32 v55, s30, v111, v55
	v_add_co_ci_u32_e64 v56, null, v112, v56, s30
	ds_write_b64 v65, v[111:112] offset:28696
	ds_write_b64 v64, v[55:56] offset:28696
.LBB1_127:                              ;   in Loop: Header=BB1_103 Depth=2
	s_or_b32 exec_lo, exec_lo, s31
	s_waitcnt lgkmcnt(0)
	s_barrier
	buffer_gl0_inv
	s_and_saveexec_b32 s31, s24
	s_cbranch_execz .LBB1_129
; %bb.128:                              ;   in Loop: Header=BB1_103 Depth=2
	ds_read_b64 v[55:56], v63 offset:28696
	ds_read_b64 v[111:112], v62 offset:28696
	s_waitcnt lgkmcnt(0)
	v_add_co_u32 v55, s30, v111, v55
	v_add_co_ci_u32_e64 v56, null, v112, v56, s30
	ds_write_b64 v63, v[111:112] offset:28696
	ds_write_b64 v62, v[55:56] offset:28696
.LBB1_129:                              ;   in Loop: Header=BB1_103 Depth=2
	s_or_b32 exec_lo, exec_lo, s31
	s_waitcnt lgkmcnt(0)
	s_barrier
	buffer_gl0_inv
	s_and_saveexec_b32 s31, s23
	s_cbranch_execz .LBB1_131
; %bb.130:                              ;   in Loop: Header=BB1_103 Depth=2
	v_add_nc_u32_e32 v50, v61, v59
	ds_read_b128 v[111:114], v50
	s_waitcnt lgkmcnt(0)
	v_add_co_u32 v123, s30, v113, v111
	v_add_co_ci_u32_e64 v124, null, v114, v112, s30
	v_mov_b32_e32 v121, v113
	v_mov_b32_e32 v122, v114
	ds_write_b128 v50, v[121:124]
.LBB1_131:                              ;   in Loop: Header=BB1_103 Depth=2
	s_or_b32 exec_lo, exec_lo, s31
	s_waitcnt lgkmcnt(0)
	s_barrier
	buffer_gl0_inv
	s_barrier
	buffer_gl0_inv
	ds_read_b64 v[55:56], v49 offset:29728
	s_waitcnt lgkmcnt(0)
	s_barrier
	buffer_gl0_inv
	ds_read_b64 v[111:112], v61
	s_waitcnt lgkmcnt(0)
	ds_write_b64 v92, v[111:112]
	s_and_saveexec_b32 s30, s29
	s_cbranch_execz .LBB1_102
; %bb.132:                              ;   in Loop: Header=BB1_103 Depth=2
	v_mov_b32_e32 v50, s34
	ds_write_b64 v50, v[55:56] offset:28672
	s_branch .LBB1_102
.LBB1_133:                              ;   in Loop: Header=BB1_53 Depth=1
	s_waitcnt lgkmcnt(0)
	s_barrier
	buffer_gl0_inv
	s_and_saveexec_b32 s30, s26
	s_cbranch_execz .LBB1_135
; %bb.134:                              ;   in Loop: Header=BB1_53 Depth=1
	buffer_load_dword v56, off, s[48:51], 0 offset:16 ; 4-byte Folded Reload
	s_waitcnt vmcnt(0)
	ds_read_b32 v50, v56 offset:4096
	s_waitcnt lgkmcnt(0)
	v_lshrrev_b32_e32 v55, 16, v50
	v_add_nc_u16 v50, v55, v50
	ds_write_b16 v56, v50 offset:4098
.LBB1_135:                              ;   in Loop: Header=BB1_53 Depth=1
	s_or_b32 exec_lo, exec_lo, s30
	s_waitcnt lgkmcnt(0)
	s_barrier
	buffer_gl0_inv
	s_and_saveexec_b32 s30, s27
	s_cbranch_execz .LBB1_137
; %bb.136:                              ;   in Loop: Header=BB1_53 Depth=1
	s_clause 0x1
	buffer_load_dword v50, off, s[48:51], 0
	buffer_load_dword v56, off, s[48:51], 0 offset:4
	s_waitcnt vmcnt(1)
	ds_read_u16 v50, v50 offset:28670
	s_waitcnt vmcnt(0)
	ds_read_u16 v55, v56 offset:28670
	s_waitcnt lgkmcnt(0)
	v_add_nc_u16 v50, v55, v50
	ds_write_b16 v56, v50 offset:28670
.LBB1_137:                              ;   in Loop: Header=BB1_53 Depth=1
	s_or_b32 exec_lo, exec_lo, s30
	s_waitcnt lgkmcnt(0)
	s_barrier
	buffer_gl0_inv
	s_and_saveexec_b32 s30, s28
	s_cbranch_execz .LBB1_139
; %bb.138:                              ;   in Loop: Header=BB1_53 Depth=1
	s_clause 0x1
	buffer_load_dword v50, off, s[48:51], 0 offset:8
	buffer_load_dword v56, off, s[48:51], 0 offset:12
	s_waitcnt vmcnt(1)
	ds_read_u16 v50, v50 offset:28670
	s_waitcnt vmcnt(0)
	ds_read_u16 v55, v56 offset:28670
	s_waitcnt lgkmcnt(0)
	v_add_nc_u16 v50, v55, v50
	ds_write_b16 v56, v50 offset:28670
.LBB1_139:                              ;   in Loop: Header=BB1_53 Depth=1
	s_or_b32 exec_lo, exec_lo, s30
	s_waitcnt lgkmcnt(0)
	s_barrier
	buffer_gl0_inv
	s_and_saveexec_b32 s30, s29
	s_cbranch_execz .LBB1_141
; %bb.140:                              ;   in Loop: Header=BB1_53 Depth=1
	ds_read_u16 v50, v49 offset:28686
	ds_read_u16 v55, v49 offset:28702
	s_waitcnt lgkmcnt(0)
	v_add_nc_u32_e32 v50, v55, v50
	ds_write_b16 v49, v50 offset:28702
.LBB1_141:                              ;   in Loop: Header=BB1_53 Depth=1
	s_or_b32 exec_lo, exec_lo, s30
	s_waitcnt lgkmcnt(0)
	s_barrier
	buffer_gl0_inv
	s_barrier
	buffer_gl0_inv
	s_and_saveexec_b32 s30, s29
	s_cbranch_execz .LBB1_143
; %bb.142:                              ;   in Loop: Header=BB1_53 Depth=1
	ds_read_u16 v50, v49 offset:28702
	s_waitcnt lgkmcnt(0)
	ds_write_b16 v49, v50 offset:29736
	s_waitcnt lgkmcnt(0)
	buffer_gl0_inv
	ds_write_b16 v49, v49 offset:28702
	s_waitcnt lgkmcnt(0)
	buffer_gl0_inv
	ds_read_u16 v50, v49 offset:28686
	ds_read_u16 v55, v49 offset:28702
	s_waitcnt lgkmcnt(0)
	v_add_nc_u32_e32 v50, v55, v50
	ds_write_b16 v49, v55 offset:28686
	ds_write_b16 v49, v50 offset:28702
.LBB1_143:                              ;   in Loop: Header=BB1_53 Depth=1
	s_or_b32 exec_lo, exec_lo, s30
	s_waitcnt lgkmcnt(0)
	s_barrier
	buffer_gl0_inv
	s_and_saveexec_b32 s30, s28
	s_cbranch_execz .LBB1_145
; %bb.144:                              ;   in Loop: Header=BB1_53 Depth=1
	s_clause 0x1
	buffer_load_dword v56, off, s[48:51], 0 offset:8
	buffer_load_dword v92, off, s[48:51], 0 offset:12
	s_waitcnt vmcnt(1)
	ds_read_u16 v50, v56 offset:28670
	s_waitcnt vmcnt(0)
	ds_read_u16 v55, v92 offset:28670
	s_waitcnt lgkmcnt(0)
	v_add_nc_u16 v50, v55, v50
	ds_write_b16 v56, v55 offset:28670
	ds_write_b16 v92, v50 offset:28670
.LBB1_145:                              ;   in Loop: Header=BB1_53 Depth=1
	s_or_b32 exec_lo, exec_lo, s30
	s_waitcnt lgkmcnt(0)
	s_barrier
	buffer_gl0_inv
	s_and_saveexec_b32 s30, s27
	s_cbranch_execz .LBB1_147
; %bb.146:                              ;   in Loop: Header=BB1_53 Depth=1
	s_clause 0x1
	buffer_load_dword v56, off, s[48:51], 0
	buffer_load_dword v92, off, s[48:51], 0 offset:4
	s_waitcnt vmcnt(1)
	ds_read_u16 v50, v56 offset:28670
	s_waitcnt vmcnt(0)
	ds_read_u16 v55, v92 offset:28670
	s_waitcnt lgkmcnt(0)
	v_add_nc_u16 v50, v55, v50
	ds_write_b16 v56, v55 offset:28670
	ds_write_b16 v92, v50 offset:28670
.LBB1_147:                              ;   in Loop: Header=BB1_53 Depth=1
	s_or_b32 exec_lo, exec_lo, s30
	s_waitcnt lgkmcnt(0)
	s_barrier
	buffer_gl0_inv
	s_and_saveexec_b32 s30, s26
	s_cbranch_execz .LBB1_52
; %bb.148:                              ;   in Loop: Header=BB1_53 Depth=1
	buffer_load_dword v56, off, s[48:51], 0 offset:16 ; 4-byte Folded Reload
	s_waitcnt vmcnt(0)
	ds_read_b32 v50, v56 offset:4096
	s_waitcnt lgkmcnt(0)
	v_lshrrev_b32_e32 v55, 16, v50
	v_add_nc_u16 v55, v55, v50
	v_alignbit_b32 v50, v55, v50, 16
	ds_write_b32 v56, v50 offset:4096
	s_branch .LBB1_52
.LBB1_149:
	s_and_saveexec_b32 s23, vcc_lo
	s_cbranch_execnz .LBB1_173
; %bb.150:
	s_or_b32 exec_lo, exec_lo, s23
	s_and_saveexec_b32 s23, s0
	s_cbranch_execnz .LBB1_174
.LBB1_151:
	s_or_b32 exec_lo, exec_lo, s23
	s_and_saveexec_b32 s0, s1
	s_cbranch_execnz .LBB1_175
.LBB1_152:
	s_or_b32 exec_lo, exec_lo, s0
	s_and_saveexec_b32 s0, s2
	s_cbranch_execnz .LBB1_176
.LBB1_153:
	s_or_b32 exec_lo, exec_lo, s0
	s_and_saveexec_b32 s0, s3
	s_cbranch_execnz .LBB1_177
.LBB1_154:
	s_or_b32 exec_lo, exec_lo, s0
	s_and_saveexec_b32 s0, s4
	s_cbranch_execnz .LBB1_178
.LBB1_155:
	s_or_b32 exec_lo, exec_lo, s0
	s_and_saveexec_b32 s0, s5
	s_cbranch_execnz .LBB1_179
.LBB1_156:
	s_or_b32 exec_lo, exec_lo, s0
	s_and_saveexec_b32 s0, s6
	s_cbranch_execnz .LBB1_180
.LBB1_157:
	s_or_b32 exec_lo, exec_lo, s0
	s_and_saveexec_b32 s0, s7
	s_cbranch_execnz .LBB1_181
.LBB1_158:
	s_or_b32 exec_lo, exec_lo, s0
	s_and_saveexec_b32 s0, s8
	s_cbranch_execnz .LBB1_182
.LBB1_159:
	s_or_b32 exec_lo, exec_lo, s0
	s_and_saveexec_b32 s0, s9
	s_cbranch_execnz .LBB1_183
.LBB1_160:
	s_or_b32 exec_lo, exec_lo, s0
	s_and_saveexec_b32 s0, s10
	s_cbranch_execnz .LBB1_184
.LBB1_161:
	s_or_b32 exec_lo, exec_lo, s0
	s_and_saveexec_b32 s0, s11
	s_cbranch_execnz .LBB1_185
.LBB1_162:
	s_or_b32 exec_lo, exec_lo, s0
	s_and_saveexec_b32 s0, s12
	s_cbranch_execnz .LBB1_186
.LBB1_163:
	s_or_b32 exec_lo, exec_lo, s0
	s_and_saveexec_b32 s0, s13
	s_cbranch_execnz .LBB1_187
.LBB1_164:
	s_or_b32 exec_lo, exec_lo, s0
	s_and_saveexec_b32 s0, s14
	s_cbranch_execnz .LBB1_188
.LBB1_165:
	s_or_b32 exec_lo, exec_lo, s0
	s_and_saveexec_b32 s0, s15
	s_cbranch_execnz .LBB1_189
.LBB1_166:
	s_or_b32 exec_lo, exec_lo, s0
	s_and_saveexec_b32 s0, s16
	s_cbranch_execnz .LBB1_190
.LBB1_167:
	s_or_b32 exec_lo, exec_lo, s0
	s_and_saveexec_b32 s0, s17
	s_cbranch_execnz .LBB1_191
.LBB1_168:
	s_or_b32 exec_lo, exec_lo, s0
	s_and_saveexec_b32 s0, s18
	s_cbranch_execnz .LBB1_192
.LBB1_169:
	s_or_b32 exec_lo, exec_lo, s0
	s_and_saveexec_b32 s0, s19
	s_cbranch_execnz .LBB1_193
.LBB1_170:
	s_or_b32 exec_lo, exec_lo, s0
	s_and_saveexec_b32 s0, s20
	s_cbranch_execnz .LBB1_194
.LBB1_171:
	s_or_b32 exec_lo, exec_lo, s0
	s_and_saveexec_b32 s0, s21
	s_cbranch_execnz .LBB1_195
.LBB1_172:
	s_or_b32 exec_lo, exec_lo, s0
	s_and_saveexec_b32 s0, s22
	s_cbranch_execz .LBB1_1
	s_branch .LBB1_196
.LBB1_173:
	s_waitcnt lgkmcnt(11)
	global_store_dword v57, v1, s[40:41]
	s_waitcnt lgkmcnt(7)
	global_store_dword v57, v5, s[42:43]
	s_or_b32 exec_lo, exec_lo, s23
	s_and_saveexec_b32 s23, s0
	s_cbranch_execz .LBB1_151
.LBB1_174:
	s_waitcnt lgkmcnt(11)
	global_store_dword v57, v2, s[40:41] offset:4
	s_waitcnt lgkmcnt(7)
	global_store_dword v57, v6, s[42:43] offset:4
	s_or_b32 exec_lo, exec_lo, s23
	s_and_saveexec_b32 s0, s1
	s_cbranch_execz .LBB1_152
.LBB1_175:
	s_waitcnt lgkmcnt(11)
	global_store_dword v57, v3, s[40:41] offset:8
	s_waitcnt lgkmcnt(7)
	global_store_dword v57, v7, s[42:43] offset:8
	s_or_b32 exec_lo, exec_lo, s0
	s_and_saveexec_b32 s0, s2
	s_cbranch_execz .LBB1_153
.LBB1_176:
	s_waitcnt lgkmcnt(11)
	global_store_dword v57, v4, s[40:41] offset:12
	s_waitcnt lgkmcnt(7)
	global_store_dword v57, v8, s[42:43] offset:12
	s_or_b32 exec_lo, exec_lo, s0
	s_and_saveexec_b32 s0, s3
	s_cbranch_execz .LBB1_154
.LBB1_177:
	s_waitcnt lgkmcnt(10)
	global_store_dword v57, v9, s[40:41] offset:16
	s_waitcnt lgkmcnt(6)
	global_store_dword v57, v13, s[42:43] offset:16
	s_or_b32 exec_lo, exec_lo, s0
	s_and_saveexec_b32 s0, s4
	s_cbranch_execz .LBB1_155
.LBB1_178:
	s_waitcnt lgkmcnt(10)
	global_store_dword v57, v10, s[40:41] offset:20
	s_waitcnt lgkmcnt(6)
	global_store_dword v57, v14, s[42:43] offset:20
	s_or_b32 exec_lo, exec_lo, s0
	s_and_saveexec_b32 s0, s5
	s_cbranch_execz .LBB1_156
.LBB1_179:
	s_waitcnt lgkmcnt(10)
	global_store_dword v57, v11, s[40:41] offset:24
	s_waitcnt lgkmcnt(6)
	global_store_dword v57, v15, s[42:43] offset:24
	s_or_b32 exec_lo, exec_lo, s0
	s_and_saveexec_b32 s0, s6
	s_cbranch_execz .LBB1_157
.LBB1_180:
	s_waitcnt lgkmcnt(10)
	global_store_dword v57, v12, s[40:41] offset:28
	s_waitcnt lgkmcnt(6)
	global_store_dword v57, v16, s[42:43] offset:28
	s_or_b32 exec_lo, exec_lo, s0
	s_and_saveexec_b32 s0, s7
	s_cbranch_execz .LBB1_158
.LBB1_181:
	s_waitcnt lgkmcnt(9)
	global_store_dword v57, v17, s[40:41] offset:32
	s_waitcnt lgkmcnt(5)
	global_store_dword v57, v25, s[42:43] offset:32
	s_or_b32 exec_lo, exec_lo, s0
	s_and_saveexec_b32 s0, s8
	s_cbranch_execz .LBB1_159
.LBB1_182:
	s_waitcnt lgkmcnt(9)
	global_store_dword v57, v18, s[40:41] offset:36
	s_waitcnt lgkmcnt(5)
	global_store_dword v57, v26, s[42:43] offset:36
	s_or_b32 exec_lo, exec_lo, s0
	s_and_saveexec_b32 s0, s9
	s_cbranch_execz .LBB1_160
.LBB1_183:
	s_waitcnt lgkmcnt(9)
	global_store_dword v57, v19, s[40:41] offset:40
	s_waitcnt lgkmcnt(5)
	global_store_dword v57, v27, s[42:43] offset:40
	s_or_b32 exec_lo, exec_lo, s0
	s_and_saveexec_b32 s0, s10
	s_cbranch_execz .LBB1_161
.LBB1_184:
	s_waitcnt lgkmcnt(9)
	global_store_dword v57, v20, s[40:41] offset:44
	s_waitcnt lgkmcnt(5)
	global_store_dword v57, v28, s[42:43] offset:44
	s_or_b32 exec_lo, exec_lo, s0
	s_and_saveexec_b32 s0, s11
	s_cbranch_execz .LBB1_162
.LBB1_185:
	s_waitcnt lgkmcnt(8)
	global_store_dword v57, v21, s[40:41] offset:48
	s_waitcnt lgkmcnt(4)
	global_store_dword v57, v29, s[42:43] offset:48
	s_or_b32 exec_lo, exec_lo, s0
	s_and_saveexec_b32 s0, s12
	s_cbranch_execz .LBB1_163
.LBB1_186:
	s_waitcnt lgkmcnt(8)
	global_store_dword v57, v22, s[40:41] offset:52
	s_waitcnt lgkmcnt(4)
	global_store_dword v57, v30, s[42:43] offset:52
	s_or_b32 exec_lo, exec_lo, s0
	s_and_saveexec_b32 s0, s13
	s_cbranch_execz .LBB1_164
.LBB1_187:
	s_waitcnt lgkmcnt(8)
	global_store_dword v57, v23, s[40:41] offset:56
	s_waitcnt lgkmcnt(4)
	global_store_dword v57, v31, s[42:43] offset:56
	s_or_b32 exec_lo, exec_lo, s0
	s_and_saveexec_b32 s0, s14
	s_cbranch_execz .LBB1_165
.LBB1_188:
	s_waitcnt lgkmcnt(8)
	global_store_dword v57, v24, s[40:41] offset:60
	s_waitcnt lgkmcnt(4)
	global_store_dword v57, v32, s[42:43] offset:60
	s_or_b32 exec_lo, exec_lo, s0
	s_and_saveexec_b32 s0, s15
	s_cbranch_execz .LBB1_166
.LBB1_189:
	s_waitcnt lgkmcnt(3)
	global_store_dword v57, v33, s[40:41] offset:64
	s_waitcnt lgkmcnt(1)
	global_store_dword v57, v37, s[42:43] offset:64
	s_or_b32 exec_lo, exec_lo, s0
	s_and_saveexec_b32 s0, s16
	s_cbranch_execz .LBB1_167
.LBB1_190:
	s_waitcnt lgkmcnt(3)
	global_store_dword v57, v34, s[40:41] offset:68
	s_waitcnt lgkmcnt(1)
	global_store_dword v57, v38, s[42:43] offset:68
	s_or_b32 exec_lo, exec_lo, s0
	s_and_saveexec_b32 s0, s17
	s_cbranch_execz .LBB1_168
.LBB1_191:
	s_waitcnt lgkmcnt(3)
	global_store_dword v57, v35, s[40:41] offset:72
	s_waitcnt lgkmcnt(1)
	global_store_dword v57, v39, s[42:43] offset:72
	s_or_b32 exec_lo, exec_lo, s0
	s_and_saveexec_b32 s0, s18
	s_cbranch_execz .LBB1_169
.LBB1_192:
	s_waitcnt lgkmcnt(3)
	global_store_dword v57, v36, s[40:41] offset:76
	s_waitcnt lgkmcnt(1)
	global_store_dword v57, v40, s[42:43] offset:76
	s_or_b32 exec_lo, exec_lo, s0
	s_and_saveexec_b32 s0, s19
	s_cbranch_execz .LBB1_170
.LBB1_193:
	s_waitcnt lgkmcnt(2)
	global_store_dword v57, v41, s[40:41] offset:80
	s_waitcnt lgkmcnt(0)
	global_store_dword v57, v45, s[42:43] offset:80
	s_or_b32 exec_lo, exec_lo, s0
	s_and_saveexec_b32 s0, s20
	s_cbranch_execz .LBB1_171
.LBB1_194:
	s_waitcnt lgkmcnt(2)
	global_store_dword v57, v42, s[40:41] offset:84
	s_waitcnt lgkmcnt(0)
	global_store_dword v57, v46, s[42:43] offset:84
	s_or_b32 exec_lo, exec_lo, s0
	s_and_saveexec_b32 s0, s21
	s_cbranch_execz .LBB1_172
.LBB1_195:
	s_waitcnt lgkmcnt(2)
	global_store_dword v57, v43, s[40:41] offset:88
	s_waitcnt lgkmcnt(0)
	global_store_dword v57, v47, s[42:43] offset:88
	s_or_b32 exec_lo, exec_lo, s0
	s_and_saveexec_b32 s0, s22
	s_cbranch_execz .LBB1_1
.LBB1_196:
	s_waitcnt lgkmcnt(2)
	global_store_dword v57, v44, s[40:41] offset:92
	s_waitcnt lgkmcnt(0)
	global_store_dword v57, v48, s[42:43] offset:92
	s_endpgm
	.section	.rodata,"a",@progbits
	.p2align	6, 0x0
	.amdhsa_kernel SortSinglePassKVKernel
		.amdhsa_group_segment_fixed_size 29744
		.amdhsa_private_segment_fixed_size 116
		.amdhsa_kernarg_size 44
		.amdhsa_user_sgpr_count 6
		.amdhsa_user_sgpr_private_segment_buffer 1
		.amdhsa_user_sgpr_dispatch_ptr 0
		.amdhsa_user_sgpr_queue_ptr 0
		.amdhsa_user_sgpr_kernarg_segment_ptr 1
		.amdhsa_user_sgpr_dispatch_id 0
		.amdhsa_user_sgpr_flat_scratch_init 0
		.amdhsa_user_sgpr_private_segment_size 0
		.amdhsa_wavefront_size32 1
		.amdhsa_uses_dynamic_stack 0
		.amdhsa_system_sgpr_private_segment_wavefront_offset 1
		.amdhsa_system_sgpr_workgroup_id_x 1
		.amdhsa_system_sgpr_workgroup_id_y 0
		.amdhsa_system_sgpr_workgroup_id_z 0
		.amdhsa_system_sgpr_workgroup_info 0
		.amdhsa_system_vgpr_workitem_id 0
		.amdhsa_next_free_vgpr 128
		.amdhsa_next_free_sgpr 52
		.amdhsa_reserve_vcc 1
		.amdhsa_reserve_flat_scratch 0
		.amdhsa_float_round_mode_32 0
		.amdhsa_float_round_mode_16_64 0
		.amdhsa_float_denorm_mode_32 3
		.amdhsa_float_denorm_mode_16_64 3
		.amdhsa_dx10_clamp 1
		.amdhsa_ieee_mode 1
		.amdhsa_fp16_overflow 0
		.amdhsa_workgroup_processor_mode 1
		.amdhsa_memory_ordered 1
		.amdhsa_forward_progress 1
		.amdhsa_shared_vgpr_count 0
		.amdhsa_exception_fp_ieee_invalid_op 0
		.amdhsa_exception_fp_denorm_src 0
		.amdhsa_exception_fp_ieee_div_zero 0
		.amdhsa_exception_fp_ieee_overflow 0
		.amdhsa_exception_fp_ieee_underflow 0
		.amdhsa_exception_fp_ieee_inexact 0
		.amdhsa_exception_int_div_zero 0
	.end_amdhsa_kernel
	.text
.Lfunc_end1:
	.size	SortSinglePassKVKernel, .Lfunc_end1-SortSinglePassKVKernel
                                        ; -- End function
	.set SortSinglePassKVKernel.num_vgpr, 128
	.set SortSinglePassKVKernel.num_agpr, 0
	.set SortSinglePassKVKernel.numbered_sgpr, 52
	.set SortSinglePassKVKernel.num_named_barrier, 0
	.set SortSinglePassKVKernel.private_seg_size, 116
	.set SortSinglePassKVKernel.uses_vcc, 1
	.set SortSinglePassKVKernel.uses_flat_scratch, 0
	.set SortSinglePassKVKernel.has_dyn_sized_stack, 0
	.set SortSinglePassKVKernel.has_recursion, 0
	.set SortSinglePassKVKernel.has_indirect_call, 0
	.section	.AMDGPU.csdata,"",@progbits
; Kernel info:
; codeLenInByte = 14868
; TotalNumSgprs: 54
; NumVgprs: 128
; ScratchSize: 116
; MemoryBound: 0
; FloatMode: 240
; IeeeMode: 1
; LDSByteSize: 29744 bytes/workgroup (compile time only)
; SGPRBlocks: 0
; VGPRBlocks: 15
; NumSGPRsForWavesPerEU: 54
; NumVGPRsForWavesPerEU: 128
; Occupancy: 8
; WaveLimiterHint : 0
; COMPUTE_PGM_RSRC2:SCRATCH_EN: 1
; COMPUTE_PGM_RSRC2:USER_SGPR: 6
; COMPUTE_PGM_RSRC2:TRAP_HANDLER: 0
; COMPUTE_PGM_RSRC2:TGID_X_EN: 1
; COMPUTE_PGM_RSRC2:TGID_Y_EN: 0
; COMPUTE_PGM_RSRC2:TGID_Z_EN: 0
; COMPUTE_PGM_RSRC2:TIDIG_COMP_CNT: 0
	.text
	.protected	GHistogram              ; -- Begin function GHistogram
	.globl	GHistogram
	.p2align	8
	.type	GHistogram,@function
GHistogram:                             ; @GHistogram
; %bb.0:
	v_cmp_gt_u32_e64 s0, 0x100, v0
	v_lshlrev_b32_e32 v3, 2, v0
	s_and_saveexec_b32 s1, s0
	s_cbranch_execz .LBB2_2
; %bb.1:
	v_mov_b32_e32 v1, 0
	ds_write2st64_b32 v3, v1, v1 offset1:4
	ds_write2st64_b32 v3, v1, v1 offset0:8 offset1:12
.LBB2_2:
	s_or_b32 exec_lo, exec_lo, s1
	s_clause 0x3
	s_load_dword s8, s[4:5], 0x8
	s_load_dword s9, s[4:5], 0x18
	s_load_dwordx2 s[2:3], s[4:5], 0x0
	s_load_dwordx2 s[6:7], s[4:5], 0x20
	v_cmp_eq_u32_e64 s1, 0, v0
	v_lshlrev_b32_e32 v4, 3, v0
	v_mov_b32_e32 v5, -1
	v_mov_b32_e32 v2, 0
	s_waitcnt lgkmcnt(0)
	s_add_i32 s12, s8, 0x7ff
	s_add_i32 s10, s9, 8
	;; [unrolled: 1-line block ×3, first 2 shown]
	s_lshr_b32 s12, s12, 11
	s_add_i32 s13, s9, 24
	s_branch .LBB2_5
.LBB2_3:                                ;   in Loop: Header=BB2_5 Depth=1
	s_or_b32 exec_lo, exec_lo, s14
	s_mov_b32 s14, 0
	s_waitcnt lgkmcnt(0)
	s_barrier
	buffer_gl0_inv
.LBB2_4:                                ;   in Loop: Header=BB2_5 Depth=1
	s_and_b32 vcc_lo, exec_lo, s14
	s_cbranch_vccnz .LBB2_24
.LBB2_5:                                ; =>This Inner Loop Header: Depth=1
	s_and_saveexec_b32 s14, s1
	s_cbranch_execz .LBB2_7
; %bb.6:                                ;   in Loop: Header=BB2_5 Depth=1
	global_atomic_inc v1, v2, v5, s[6:7] glc
	s_waitcnt vmcnt(0)
	ds_write_b32 v2, v1 offset:4096
.LBB2_7:                                ;   in Loop: Header=BB2_5 Depth=1
	s_or_b32 exec_lo, exec_lo, s14
	s_waitcnt lgkmcnt(0)
	s_barrier
	buffer_gl0_inv
	ds_read_b32 v1, v2 offset:4096
	s_mov_b32 s14, -1
	s_waitcnt lgkmcnt(0)
	v_cmp_le_u32_e32 vcc_lo, s12, v1
	s_cbranch_vccnz .LBB2_4
; %bb.8:                                ;   in Loop: Header=BB2_5 Depth=1
	v_lshl_add_u32 v1, v1, 11, v4
	s_mov_b32 s14, exec_lo
	v_cmpx_gt_u32_e64 s8, v1
	s_cbranch_execz .LBB2_10
; %bb.9:                                ;   in Loop: Header=BB2_5 Depth=1
	v_lshlrev_b64 v[6:7], 2, v[1:2]
	v_add_co_u32 v6, vcc_lo, s2, v6
	v_add_co_ci_u32_e64 v7, null, s3, v7, vcc_lo
	global_load_dword v6, v[6:7], off
	s_waitcnt vmcnt(0)
	v_bfe_u32 v7, v6, s9, 8
	v_bfe_u32 v8, v6, s10, 8
	;; [unrolled: 1-line block ×4, first 2 shown]
	v_lshlrev_b32_e32 v7, 2, v7
	v_lshlrev_b32_e32 v8, 2, v8
	;; [unrolled: 1-line block ×4, first 2 shown]
	ds_inc_u32 v7, v5
	ds_inc_u32 v8, v5 offset:1024
	ds_inc_u32 v9, v5 offset:2048
	;; [unrolled: 1-line block ×3, first 2 shown]
.LBB2_10:                               ;   in Loop: Header=BB2_5 Depth=1
	s_or_b32 exec_lo, exec_lo, s14
	v_or_b32_e32 v6, 1, v1
	s_mov_b32 s14, exec_lo
	v_cmpx_gt_u32_e64 s8, v6
	s_cbranch_execz .LBB2_12
; %bb.11:                               ;   in Loop: Header=BB2_5 Depth=1
	v_lshlrev_b64 v[6:7], 2, v[1:2]
	v_add_co_u32 v6, vcc_lo, s2, v6
	v_add_co_ci_u32_e64 v7, null, s3, v7, vcc_lo
	global_load_dword v6, v[6:7], off offset:4
	s_waitcnt vmcnt(0)
	v_bfe_u32 v7, v6, s9, 8
	v_bfe_u32 v8, v6, s10, 8
	v_bfe_u32 v9, v6, s11, 8
	v_bfe_u32 v6, v6, s13, 8
	v_lshlrev_b32_e32 v7, 2, v7
	v_lshlrev_b32_e32 v8, 2, v8
	v_lshlrev_b32_e32 v9, 2, v9
	v_lshlrev_b32_e32 v6, 2, v6
	ds_inc_u32 v7, v5
	ds_inc_u32 v8, v5 offset:1024
	ds_inc_u32 v9, v5 offset:2048
	ds_inc_u32 v6, v5 offset:3072
.LBB2_12:                               ;   in Loop: Header=BB2_5 Depth=1
	s_or_b32 exec_lo, exec_lo, s14
	v_or_b32_e32 v6, 2, v1
	s_mov_b32 s14, exec_lo
	v_cmpx_gt_u32_e64 s8, v6
	s_cbranch_execz .LBB2_14
; %bb.13:                               ;   in Loop: Header=BB2_5 Depth=1
	v_lshlrev_b64 v[6:7], 2, v[1:2]
	v_add_co_u32 v6, vcc_lo, s2, v6
	v_add_co_ci_u32_e64 v7, null, s3, v7, vcc_lo
	global_load_dword v6, v[6:7], off offset:8
	s_waitcnt vmcnt(0)
	v_bfe_u32 v7, v6, s9, 8
	v_bfe_u32 v8, v6, s10, 8
	v_bfe_u32 v9, v6, s11, 8
	v_bfe_u32 v6, v6, s13, 8
	v_lshlrev_b32_e32 v7, 2, v7
	v_lshlrev_b32_e32 v8, 2, v8
	v_lshlrev_b32_e32 v9, 2, v9
	v_lshlrev_b32_e32 v6, 2, v6
	ds_inc_u32 v7, v5
	ds_inc_u32 v8, v5 offset:1024
	ds_inc_u32 v9, v5 offset:2048
	ds_inc_u32 v6, v5 offset:3072
.LBB2_14:                               ;   in Loop: Header=BB2_5 Depth=1
	s_or_b32 exec_lo, exec_lo, s14
	v_or_b32_e32 v6, 3, v1
	s_mov_b32 s14, exec_lo
	v_cmpx_gt_u32_e64 s8, v6
	s_cbranch_execz .LBB2_16
; %bb.15:                               ;   in Loop: Header=BB2_5 Depth=1
	v_lshlrev_b64 v[6:7], 2, v[1:2]
	v_add_co_u32 v6, vcc_lo, s2, v6
	v_add_co_ci_u32_e64 v7, null, s3, v7, vcc_lo
	global_load_dword v6, v[6:7], off offset:12
	s_waitcnt vmcnt(0)
	v_bfe_u32 v7, v6, s9, 8
	v_bfe_u32 v8, v6, s10, 8
	v_bfe_u32 v9, v6, s11, 8
	v_bfe_u32 v6, v6, s13, 8
	v_lshlrev_b32_e32 v7, 2, v7
	v_lshlrev_b32_e32 v8, 2, v8
	v_lshlrev_b32_e32 v9, 2, v9
	v_lshlrev_b32_e32 v6, 2, v6
	ds_inc_u32 v7, v5
	ds_inc_u32 v8, v5 offset:1024
	ds_inc_u32 v9, v5 offset:2048
	ds_inc_u32 v6, v5 offset:3072
.LBB2_16:                               ;   in Loop: Header=BB2_5 Depth=1
	s_or_b32 exec_lo, exec_lo, s14
	v_or_b32_e32 v6, 4, v1
	s_mov_b32 s14, exec_lo
	v_cmpx_gt_u32_e64 s8, v6
	s_cbranch_execz .LBB2_18
; %bb.17:                               ;   in Loop: Header=BB2_5 Depth=1
	v_lshlrev_b64 v[6:7], 2, v[1:2]
	v_add_co_u32 v6, vcc_lo, s2, v6
	v_add_co_ci_u32_e64 v7, null, s3, v7, vcc_lo
	global_load_dword v6, v[6:7], off offset:16
	s_waitcnt vmcnt(0)
	v_bfe_u32 v7, v6, s9, 8
	v_bfe_u32 v8, v6, s10, 8
	v_bfe_u32 v9, v6, s11, 8
	v_bfe_u32 v6, v6, s13, 8
	v_lshlrev_b32_e32 v7, 2, v7
	v_lshlrev_b32_e32 v8, 2, v8
	v_lshlrev_b32_e32 v9, 2, v9
	v_lshlrev_b32_e32 v6, 2, v6
	ds_inc_u32 v7, v5
	ds_inc_u32 v8, v5 offset:1024
	ds_inc_u32 v9, v5 offset:2048
	ds_inc_u32 v6, v5 offset:3072
.LBB2_18:                               ;   in Loop: Header=BB2_5 Depth=1
	s_or_b32 exec_lo, exec_lo, s14
	v_or_b32_e32 v6, 5, v1
	s_mov_b32 s14, exec_lo
	v_cmpx_gt_u32_e64 s8, v6
	s_cbranch_execz .LBB2_20
; %bb.19:                               ;   in Loop: Header=BB2_5 Depth=1
	v_lshlrev_b64 v[6:7], 2, v[1:2]
	v_add_co_u32 v6, vcc_lo, s2, v6
	v_add_co_ci_u32_e64 v7, null, s3, v7, vcc_lo
	global_load_dword v6, v[6:7], off offset:20
	s_waitcnt vmcnt(0)
	v_bfe_u32 v7, v6, s9, 8
	v_bfe_u32 v8, v6, s10, 8
	v_bfe_u32 v9, v6, s11, 8
	v_bfe_u32 v6, v6, s13, 8
	v_lshlrev_b32_e32 v7, 2, v7
	v_lshlrev_b32_e32 v8, 2, v8
	v_lshlrev_b32_e32 v9, 2, v9
	v_lshlrev_b32_e32 v6, 2, v6
	ds_inc_u32 v7, v5
	ds_inc_u32 v8, v5 offset:1024
	ds_inc_u32 v9, v5 offset:2048
	ds_inc_u32 v6, v5 offset:3072
.LBB2_20:                               ;   in Loop: Header=BB2_5 Depth=1
	s_or_b32 exec_lo, exec_lo, s14
	v_or_b32_e32 v6, 6, v1
	s_mov_b32 s14, exec_lo
	v_cmpx_gt_u32_e64 s8, v6
	s_cbranch_execz .LBB2_22
; %bb.21:                               ;   in Loop: Header=BB2_5 Depth=1
	v_lshlrev_b64 v[6:7], 2, v[1:2]
	v_add_co_u32 v6, vcc_lo, s2, v6
	v_add_co_ci_u32_e64 v7, null, s3, v7, vcc_lo
	global_load_dword v6, v[6:7], off offset:24
	s_waitcnt vmcnt(0)
	v_bfe_u32 v7, v6, s9, 8
	v_bfe_u32 v8, v6, s10, 8
	v_bfe_u32 v9, v6, s11, 8
	v_bfe_u32 v6, v6, s13, 8
	v_lshlrev_b32_e32 v7, 2, v7
	v_lshlrev_b32_e32 v8, 2, v8
	v_lshlrev_b32_e32 v9, 2, v9
	v_lshlrev_b32_e32 v6, 2, v6
	ds_inc_u32 v7, v5
	ds_inc_u32 v8, v5 offset:1024
	ds_inc_u32 v9, v5 offset:2048
	ds_inc_u32 v6, v5 offset:3072
.LBB2_22:                               ;   in Loop: Header=BB2_5 Depth=1
	s_or_b32 exec_lo, exec_lo, s14
	v_or_b32_e32 v6, 7, v1
	s_mov_b32 s14, exec_lo
	v_cmpx_gt_u32_e64 s8, v6
	s_cbranch_execz .LBB2_3
; %bb.23:                               ;   in Loop: Header=BB2_5 Depth=1
	v_lshlrev_b64 v[6:7], 2, v[1:2]
	v_add_co_u32 v6, vcc_lo, s2, v6
	v_add_co_ci_u32_e64 v7, null, s3, v7, vcc_lo
	global_load_dword v1, v[6:7], off offset:28
	s_waitcnt vmcnt(0)
	v_bfe_u32 v6, v1, s9, 8
	v_bfe_u32 v7, v1, s10, 8
	;; [unrolled: 1-line block ×4, first 2 shown]
	v_lshlrev_b32_e32 v6, 2, v6
	v_lshlrev_b32_e32 v7, 2, v7
	;; [unrolled: 1-line block ×4, first 2 shown]
	ds_inc_u32 v6, v5
	ds_inc_u32 v7, v5 offset:1024
	ds_inc_u32 v8, v5 offset:2048
	;; [unrolled: 1-line block ×3, first 2 shown]
	s_branch .LBB2_3
.LBB2_24:
	v_cmp_gt_u32_e32 vcc_lo, 0x100, v0
	v_mov_b32_e32 v1, 0
	s_and_saveexec_b32 s1, vcc_lo
; %bb.25:
	ds_read_b32 v1, v3
; %bb.26:
	s_or_b32 exec_lo, exec_lo, s1
	v_add_nc_u32_e32 v4, 0xffffff00, v0
	s_waitcnt lgkmcnt(0)
	v_mov_b32_e32 v2, v1
	v_cmp_lt_u32_e64 s2, 0xffffff00, v4
	s_and_saveexec_b32 s1, s2
	s_cbranch_execz .LBB2_28
; %bb.27:
	v_add_nc_u32_e32 v2, -4, v3
	ds_read_b32 v2, v2
	s_waitcnt lgkmcnt(0)
	v_add_nc_u32_e32 v2, v2, v1
.LBB2_28:
	s_or_b32 exec_lo, exec_lo, s1
	s_barrier
	buffer_gl0_inv
	s_and_saveexec_b32 s1, vcc_lo
; %bb.29:
	ds_write_b32 v3, v2
; %bb.30:
	s_or_b32 exec_lo, exec_lo, s1
	v_cmp_lt_u32_e64 s1, 0xffffff01, v4
	s_waitcnt lgkmcnt(0)
	s_barrier
	buffer_gl0_inv
	s_and_saveexec_b32 s3, s1
	s_cbranch_execz .LBB2_32
; %bb.31:
	v_add_nc_u32_e32 v5, -8, v3
	ds_read_b32 v5, v5
	s_waitcnt lgkmcnt(0)
	v_add_nc_u32_e32 v2, v5, v2
.LBB2_32:
	s_or_b32 exec_lo, exec_lo, s3
	s_barrier
	buffer_gl0_inv
	s_and_saveexec_b32 s3, vcc_lo
; %bb.33:
	ds_write_b32 v3, v2
; %bb.34:
	s_or_b32 exec_lo, exec_lo, s3
	v_cmp_lt_u32_e64 s3, 0xffffff03, v4
	s_waitcnt lgkmcnt(0)
	s_barrier
	buffer_gl0_inv
	;; [unrolled: 20-line block ×3, first 2 shown]
	s_and_saveexec_b32 s7, s6
	s_cbranch_execz .LBB2_40
; %bb.39:
	v_subrev_nc_u32_e32 v5, 32, v3
	ds_read_b32 v5, v5
	s_waitcnt lgkmcnt(0)
	v_add_nc_u32_e32 v2, v5, v2
.LBB2_40:
	s_or_b32 exec_lo, exec_lo, s7
	s_barrier
	buffer_gl0_inv
	s_and_saveexec_b32 s7, vcc_lo
; %bb.41:
	ds_write_b32 v3, v2
; %bb.42:
	s_or_b32 exec_lo, exec_lo, s7
	v_cmp_lt_u32_e64 s7, 0xffffff0f, v4
	s_waitcnt lgkmcnt(0)
	s_barrier
	buffer_gl0_inv
	s_and_saveexec_b32 s8, s7
	s_cbranch_execz .LBB2_44
; %bb.43:
	v_subrev_nc_u32_e32 v5, 64, v3
	ds_read_b32 v5, v5
	s_waitcnt lgkmcnt(0)
	v_add_nc_u32_e32 v2, v5, v2
.LBB2_44:
	s_or_b32 exec_lo, exec_lo, s8
	s_barrier
	buffer_gl0_inv
	s_and_saveexec_b32 s8, vcc_lo
; %bb.45:
	ds_write_b32 v3, v2
; %bb.46:
	s_or_b32 exec_lo, exec_lo, s8
	v_cmp_lt_u32_e64 s8, 0xffffff1f, v4
	s_waitcnt lgkmcnt(0)
	s_barrier
	buffer_gl0_inv
	s_and_saveexec_b32 s9, s8
	s_cbranch_execz .LBB2_48
; %bb.47:
	v_add_nc_u32_e32 v5, 0xffffff80, v3
	ds_read_b32 v5, v5
	s_waitcnt lgkmcnt(0)
	v_add_nc_u32_e32 v2, v5, v2
.LBB2_48:
	s_or_b32 exec_lo, exec_lo, s9
	s_barrier
	buffer_gl0_inv
	s_and_saveexec_b32 s9, vcc_lo
; %bb.49:
	ds_write_b32 v3, v2
; %bb.50:
	s_or_b32 exec_lo, exec_lo, s9
	v_cmp_lt_u32_e64 s9, 0xffffff3f, v4
	s_waitcnt lgkmcnt(0)
	s_barrier
	buffer_gl0_inv
	s_and_saveexec_b32 s10, s9
	s_cbranch_execz .LBB2_52
; %bb.51:
	v_add_nc_u32_e32 v4, 0xffffff00, v3
	ds_read_b32 v4, v4
	s_waitcnt lgkmcnt(0)
	v_add_nc_u32_e32 v2, v4, v2
.LBB2_52:
	s_or_b32 exec_lo, exec_lo, s10
	s_barrier
	buffer_gl0_inv
	s_and_saveexec_b32 s10, vcc_lo
; %bb.53:
	ds_write_b32 v3, v2
; %bb.54:
	s_or_b32 exec_lo, exec_lo, s10
	v_and_b32_e32 v0, 0x380, v0
	s_waitcnt lgkmcnt(0)
	s_barrier
	buffer_gl0_inv
	v_cmp_eq_u32_e64 s10, 0x80, v0
	s_and_saveexec_b32 s11, s10
	s_cbranch_execz .LBB2_56
; %bb.55:
	v_add_nc_u32_e32 v0, 0xfffffe00, v3
	ds_read_b32 v0, v0
	s_waitcnt lgkmcnt(0)
	v_add_nc_u32_e32 v2, v0, v2
.LBB2_56:
	s_or_b32 exec_lo, exec_lo, s11
	s_barrier
	buffer_gl0_inv
	s_and_saveexec_b32 s11, vcc_lo
; %bb.57:
	ds_write_b32 v3, v2
; %bb.58:
	s_or_b32 exec_lo, exec_lo, s11
	s_waitcnt lgkmcnt(0)
	s_barrier
	buffer_gl0_inv
	s_barrier
	buffer_gl0_inv
	s_and_saveexec_b32 s11, vcc_lo
; %bb.59:
	v_sub_nc_u32_e32 v0, v2, v1
	ds_write_b32 v3, v0
; %bb.60:
	s_or_b32 exec_lo, exec_lo, s11
	v_mov_b32_e32 v0, 0
	s_waitcnt lgkmcnt(0)
	s_barrier
	buffer_gl0_inv
	s_and_saveexec_b32 s11, vcc_lo
; %bb.61:
	ds_read_b32 v0, v3 offset:1024
; %bb.62:
	s_or_b32 exec_lo, exec_lo, s11
	s_waitcnt lgkmcnt(0)
	v_mov_b32_e32 v1, v0
	s_and_saveexec_b32 s11, s2
	s_cbranch_execz .LBB2_64
; %bb.63:
	ds_read_b32 v1, v3 offset:1020
	s_waitcnt lgkmcnt(0)
	v_add_nc_u32_e32 v1, v1, v0
.LBB2_64:
	s_or_b32 exec_lo, exec_lo, s11
	s_barrier
	buffer_gl0_inv
	s_and_saveexec_b32 s11, vcc_lo
; %bb.65:
	ds_write_b32 v3, v1 offset:1024
; %bb.66:
	s_or_b32 exec_lo, exec_lo, s11
	s_waitcnt lgkmcnt(0)
	s_barrier
	buffer_gl0_inv
	s_and_saveexec_b32 s11, s1
	s_cbranch_execz .LBB2_68
; %bb.67:
	ds_read_b32 v2, v3 offset:1016
	s_waitcnt lgkmcnt(0)
	v_add_nc_u32_e32 v1, v2, v1
.LBB2_68:
	s_or_b32 exec_lo, exec_lo, s11
	s_barrier
	buffer_gl0_inv
	s_and_saveexec_b32 s11, vcc_lo
; %bb.69:
	ds_write_b32 v3, v1 offset:1024
; %bb.70:
	s_or_b32 exec_lo, exec_lo, s11
	s_waitcnt lgkmcnt(0)
	s_barrier
	buffer_gl0_inv
	s_and_saveexec_b32 s11, s3
	s_cbranch_execz .LBB2_72
; %bb.71:
	ds_read_b32 v2, v3 offset:1008
	s_waitcnt lgkmcnt(0)
	v_add_nc_u32_e32 v1, v2, v1
.LBB2_72:
	s_or_b32 exec_lo, exec_lo, s11
	s_barrier
	buffer_gl0_inv
	s_and_saveexec_b32 s11, vcc_lo
; %bb.73:
	ds_write_b32 v3, v1 offset:1024
; %bb.74:
	s_or_b32 exec_lo, exec_lo, s11
	s_waitcnt lgkmcnt(0)
	s_barrier
	buffer_gl0_inv
	s_and_saveexec_b32 s11, s6
	s_cbranch_execz .LBB2_76
; %bb.75:
	ds_read_b32 v2, v3 offset:992
	s_waitcnt lgkmcnt(0)
	v_add_nc_u32_e32 v1, v2, v1
.LBB2_76:
	s_or_b32 exec_lo, exec_lo, s11
	s_barrier
	buffer_gl0_inv
	s_and_saveexec_b32 s11, vcc_lo
; %bb.77:
	ds_write_b32 v3, v1 offset:1024
; %bb.78:
	s_or_b32 exec_lo, exec_lo, s11
	s_waitcnt lgkmcnt(0)
	s_barrier
	buffer_gl0_inv
	s_and_saveexec_b32 s11, s7
	s_cbranch_execz .LBB2_80
; %bb.79:
	ds_read_b32 v2, v3 offset:960
	s_waitcnt lgkmcnt(0)
	v_add_nc_u32_e32 v1, v2, v1
.LBB2_80:
	s_or_b32 exec_lo, exec_lo, s11
	s_barrier
	buffer_gl0_inv
	s_and_saveexec_b32 s11, vcc_lo
; %bb.81:
	ds_write_b32 v3, v1 offset:1024
; %bb.82:
	s_or_b32 exec_lo, exec_lo, s11
	s_waitcnt lgkmcnt(0)
	s_barrier
	buffer_gl0_inv
	s_and_saveexec_b32 s11, s8
	s_cbranch_execz .LBB2_84
; %bb.83:
	ds_read_b32 v2, v3 offset:896
	s_waitcnt lgkmcnt(0)
	v_add_nc_u32_e32 v1, v2, v1
.LBB2_84:
	s_or_b32 exec_lo, exec_lo, s11
	s_barrier
	buffer_gl0_inv
	s_and_saveexec_b32 s11, vcc_lo
; %bb.85:
	ds_write_b32 v3, v1 offset:1024
; %bb.86:
	s_or_b32 exec_lo, exec_lo, s11
	s_waitcnt lgkmcnt(0)
	s_barrier
	buffer_gl0_inv
	s_and_saveexec_b32 s11, s9
	s_cbranch_execz .LBB2_88
; %bb.87:
	ds_read_b32 v2, v3 offset:768
	s_waitcnt lgkmcnt(0)
	v_add_nc_u32_e32 v1, v2, v1
.LBB2_88:
	s_or_b32 exec_lo, exec_lo, s11
	s_barrier
	buffer_gl0_inv
	s_and_saveexec_b32 s11, vcc_lo
; %bb.89:
	ds_write_b32 v3, v1 offset:1024
; %bb.90:
	s_or_b32 exec_lo, exec_lo, s11
	s_waitcnt lgkmcnt(0)
	s_barrier
	buffer_gl0_inv
	s_and_saveexec_b32 s11, s10
	s_cbranch_execz .LBB2_92
; %bb.91:
	ds_read_b32 v2, v3 offset:512
	s_waitcnt lgkmcnt(0)
	v_add_nc_u32_e32 v1, v2, v1
.LBB2_92:
	s_or_b32 exec_lo, exec_lo, s11
	s_barrier
	buffer_gl0_inv
	s_and_saveexec_b32 s11, vcc_lo
; %bb.93:
	ds_write_b32 v3, v1 offset:1024
; %bb.94:
	s_or_b32 exec_lo, exec_lo, s11
	s_waitcnt lgkmcnt(0)
	s_barrier
	buffer_gl0_inv
	s_barrier
	buffer_gl0_inv
	s_and_saveexec_b32 s11, vcc_lo
; %bb.95:
	v_sub_nc_u32_e32 v0, v1, v0
	ds_write_b32 v3, v0 offset:1024
; %bb.96:
	s_or_b32 exec_lo, exec_lo, s11
	v_mov_b32_e32 v0, 0
	s_waitcnt lgkmcnt(0)
	s_barrier
	buffer_gl0_inv
	s_and_saveexec_b32 s11, vcc_lo
; %bb.97:
	ds_read_b32 v0, v3 offset:2048
; %bb.98:
	s_or_b32 exec_lo, exec_lo, s11
	s_waitcnt lgkmcnt(0)
	v_mov_b32_e32 v1, v0
	s_and_saveexec_b32 s11, s2
	s_cbranch_execz .LBB2_100
; %bb.99:
	ds_read_b32 v1, v3 offset:2044
	s_waitcnt lgkmcnt(0)
	v_add_nc_u32_e32 v1, v1, v0
.LBB2_100:
	s_or_b32 exec_lo, exec_lo, s11
	s_barrier
	buffer_gl0_inv
	s_and_saveexec_b32 s11, vcc_lo
; %bb.101:
	ds_write_b32 v3, v1 offset:2048
; %bb.102:
	s_or_b32 exec_lo, exec_lo, s11
	s_waitcnt lgkmcnt(0)
	s_barrier
	buffer_gl0_inv
	s_and_saveexec_b32 s11, s1
	s_cbranch_execz .LBB2_104
; %bb.103:
	ds_read_b32 v2, v3 offset:2040
	s_waitcnt lgkmcnt(0)
	v_add_nc_u32_e32 v1, v2, v1
.LBB2_104:
	s_or_b32 exec_lo, exec_lo, s11
	s_barrier
	buffer_gl0_inv
	s_and_saveexec_b32 s11, vcc_lo
; %bb.105:
	ds_write_b32 v3, v1 offset:2048
; %bb.106:
	s_or_b32 exec_lo, exec_lo, s11
	s_waitcnt lgkmcnt(0)
	s_barrier
	buffer_gl0_inv
	s_and_saveexec_b32 s11, s3
	s_cbranch_execz .LBB2_108
; %bb.107:
	ds_read_b32 v2, v3 offset:2032
	s_waitcnt lgkmcnt(0)
	v_add_nc_u32_e32 v1, v2, v1
.LBB2_108:
	s_or_b32 exec_lo, exec_lo, s11
	s_barrier
	buffer_gl0_inv
	s_and_saveexec_b32 s11, vcc_lo
; %bb.109:
	ds_write_b32 v3, v1 offset:2048
; %bb.110:
	s_or_b32 exec_lo, exec_lo, s11
	s_waitcnt lgkmcnt(0)
	s_barrier
	buffer_gl0_inv
	s_and_saveexec_b32 s11, s6
	s_cbranch_execz .LBB2_112
; %bb.111:
	ds_read_b32 v2, v3 offset:2016
	s_waitcnt lgkmcnt(0)
	v_add_nc_u32_e32 v1, v2, v1
.LBB2_112:
	s_or_b32 exec_lo, exec_lo, s11
	s_barrier
	buffer_gl0_inv
	s_and_saveexec_b32 s11, vcc_lo
; %bb.113:
	ds_write_b32 v3, v1 offset:2048
; %bb.114:
	s_or_b32 exec_lo, exec_lo, s11
	s_waitcnt lgkmcnt(0)
	s_barrier
	buffer_gl0_inv
	s_and_saveexec_b32 s11, s7
	s_cbranch_execz .LBB2_116
; %bb.115:
	ds_read_b32 v2, v3 offset:1984
	s_waitcnt lgkmcnt(0)
	v_add_nc_u32_e32 v1, v2, v1
.LBB2_116:
	s_or_b32 exec_lo, exec_lo, s11
	s_barrier
	buffer_gl0_inv
	s_and_saveexec_b32 s11, vcc_lo
; %bb.117:
	ds_write_b32 v3, v1 offset:2048
; %bb.118:
	s_or_b32 exec_lo, exec_lo, s11
	s_waitcnt lgkmcnt(0)
	s_barrier
	buffer_gl0_inv
	s_and_saveexec_b32 s11, s8
	s_cbranch_execz .LBB2_120
; %bb.119:
	ds_read_b32 v2, v3 offset:1920
	s_waitcnt lgkmcnt(0)
	v_add_nc_u32_e32 v1, v2, v1
.LBB2_120:
	s_or_b32 exec_lo, exec_lo, s11
	s_barrier
	buffer_gl0_inv
	s_and_saveexec_b32 s11, vcc_lo
; %bb.121:
	ds_write_b32 v3, v1 offset:2048
; %bb.122:
	s_or_b32 exec_lo, exec_lo, s11
	s_waitcnt lgkmcnt(0)
	s_barrier
	buffer_gl0_inv
	s_and_saveexec_b32 s11, s9
	s_cbranch_execz .LBB2_124
; %bb.123:
	ds_read_b32 v2, v3 offset:1792
	s_waitcnt lgkmcnt(0)
	v_add_nc_u32_e32 v1, v2, v1
.LBB2_124:
	s_or_b32 exec_lo, exec_lo, s11
	s_barrier
	buffer_gl0_inv
	s_and_saveexec_b32 s11, vcc_lo
; %bb.125:
	ds_write_b32 v3, v1 offset:2048
; %bb.126:
	s_or_b32 exec_lo, exec_lo, s11
	s_waitcnt lgkmcnt(0)
	s_barrier
	buffer_gl0_inv
	s_and_saveexec_b32 s11, s10
	s_cbranch_execz .LBB2_128
; %bb.127:
	ds_read_b32 v2, v3 offset:1536
	s_waitcnt lgkmcnt(0)
	v_add_nc_u32_e32 v1, v2, v1
.LBB2_128:
	s_or_b32 exec_lo, exec_lo, s11
	s_barrier
	buffer_gl0_inv
	s_and_saveexec_b32 s11, vcc_lo
; %bb.129:
	ds_write_b32 v3, v1 offset:2048
; %bb.130:
	s_or_b32 exec_lo, exec_lo, s11
	s_waitcnt lgkmcnt(0)
	s_barrier
	buffer_gl0_inv
	s_barrier
	buffer_gl0_inv
	s_and_saveexec_b32 s11, vcc_lo
; %bb.131:
	v_sub_nc_u32_e32 v0, v1, v0
	ds_write_b32 v3, v0 offset:2048
; %bb.132:
	s_or_b32 exec_lo, exec_lo, s11
	v_mov_b32_e32 v0, 0
	s_waitcnt lgkmcnt(0)
	s_barrier
	buffer_gl0_inv
	s_and_saveexec_b32 s11, vcc_lo
; %bb.133:
	ds_read_b32 v0, v3 offset:3072
; %bb.134:
	s_or_b32 exec_lo, exec_lo, s11
	s_waitcnt lgkmcnt(0)
	v_mov_b32_e32 v1, v0
	s_and_saveexec_b32 s11, s2
	s_cbranch_execz .LBB2_136
; %bb.135:
	ds_read_b32 v1, v3 offset:3068
	s_waitcnt lgkmcnt(0)
	v_add_nc_u32_e32 v1, v1, v0
.LBB2_136:
	s_or_b32 exec_lo, exec_lo, s11
	s_barrier
	buffer_gl0_inv
	s_and_saveexec_b32 s2, vcc_lo
; %bb.137:
	ds_write_b32 v3, v1 offset:3072
; %bb.138:
	s_or_b32 exec_lo, exec_lo, s2
	s_waitcnt lgkmcnt(0)
	s_barrier
	buffer_gl0_inv
	s_and_saveexec_b32 s2, s1
	s_cbranch_execz .LBB2_140
; %bb.139:
	ds_read_b32 v2, v3 offset:3064
	s_waitcnt lgkmcnt(0)
	v_add_nc_u32_e32 v1, v2, v1
.LBB2_140:
	s_or_b32 exec_lo, exec_lo, s2
	s_barrier
	buffer_gl0_inv
	s_and_saveexec_b32 s1, vcc_lo
; %bb.141:
	ds_write_b32 v3, v1 offset:3072
; %bb.142:
	s_or_b32 exec_lo, exec_lo, s1
	s_waitcnt lgkmcnt(0)
	s_barrier
	buffer_gl0_inv
	s_and_saveexec_b32 s1, s3
	s_cbranch_execz .LBB2_144
; %bb.143:
	ds_read_b32 v2, v3 offset:3056
	s_waitcnt lgkmcnt(0)
	v_add_nc_u32_e32 v1, v2, v1
.LBB2_144:
	s_or_b32 exec_lo, exec_lo, s1
	s_barrier
	buffer_gl0_inv
	s_and_saveexec_b32 s1, vcc_lo
; %bb.145:
	ds_write_b32 v3, v1 offset:3072
; %bb.146:
	s_or_b32 exec_lo, exec_lo, s1
	s_waitcnt lgkmcnt(0)
	s_barrier
	buffer_gl0_inv
	s_and_saveexec_b32 s1, s6
	s_cbranch_execz .LBB2_148
; %bb.147:
	ds_read_b32 v2, v3 offset:3040
	s_waitcnt lgkmcnt(0)
	v_add_nc_u32_e32 v1, v2, v1
.LBB2_148:
	s_or_b32 exec_lo, exec_lo, s1
	s_barrier
	buffer_gl0_inv
	s_and_saveexec_b32 s1, vcc_lo
; %bb.149:
	ds_write_b32 v3, v1 offset:3072
; %bb.150:
	s_or_b32 exec_lo, exec_lo, s1
	s_waitcnt lgkmcnt(0)
	s_barrier
	buffer_gl0_inv
	s_and_saveexec_b32 s1, s7
	s_cbranch_execz .LBB2_152
; %bb.151:
	ds_read_b32 v2, v3 offset:3008
	s_waitcnt lgkmcnt(0)
	v_add_nc_u32_e32 v1, v2, v1
.LBB2_152:
	s_or_b32 exec_lo, exec_lo, s1
	s_barrier
	buffer_gl0_inv
	s_and_saveexec_b32 s1, vcc_lo
; %bb.153:
	ds_write_b32 v3, v1 offset:3072
; %bb.154:
	s_or_b32 exec_lo, exec_lo, s1
	s_waitcnt lgkmcnt(0)
	s_barrier
	buffer_gl0_inv
	s_and_saveexec_b32 s1, s8
	s_cbranch_execz .LBB2_156
; %bb.155:
	ds_read_b32 v2, v3 offset:2944
	s_waitcnt lgkmcnt(0)
	v_add_nc_u32_e32 v1, v2, v1
.LBB2_156:
	s_or_b32 exec_lo, exec_lo, s1
	s_barrier
	buffer_gl0_inv
	s_and_saveexec_b32 s1, vcc_lo
; %bb.157:
	ds_write_b32 v3, v1 offset:3072
; %bb.158:
	s_or_b32 exec_lo, exec_lo, s1
	s_waitcnt lgkmcnt(0)
	s_barrier
	buffer_gl0_inv
	s_and_saveexec_b32 s1, s9
	s_cbranch_execz .LBB2_160
; %bb.159:
	ds_read_b32 v2, v3 offset:2816
	s_waitcnt lgkmcnt(0)
	v_add_nc_u32_e32 v1, v2, v1
.LBB2_160:
	s_or_b32 exec_lo, exec_lo, s1
	s_barrier
	buffer_gl0_inv
	s_and_saveexec_b32 s1, vcc_lo
; %bb.161:
	ds_write_b32 v3, v1 offset:3072
; %bb.162:
	s_or_b32 exec_lo, exec_lo, s1
	s_waitcnt lgkmcnt(0)
	s_barrier
	buffer_gl0_inv
	s_and_saveexec_b32 s1, s10
	s_cbranch_execz .LBB2_164
; %bb.163:
	ds_read_b32 v2, v3 offset:2560
	s_waitcnt lgkmcnt(0)
	v_add_nc_u32_e32 v1, v2, v1
.LBB2_164:
	s_or_b32 exec_lo, exec_lo, s1
	s_barrier
	buffer_gl0_inv
	s_and_saveexec_b32 s1, vcc_lo
; %bb.165:
	ds_write_b32 v3, v1 offset:3072
; %bb.166:
	s_or_b32 exec_lo, exec_lo, s1
	s_waitcnt lgkmcnt(0)
	s_barrier
	buffer_gl0_inv
	s_barrier
	buffer_gl0_inv
	s_and_saveexec_b32 s1, vcc_lo
; %bb.167:
	v_sub_nc_u32_e32 v0, v1, v0
	ds_write_b32 v3, v0 offset:3072
; %bb.168:
	s_or_b32 exec_lo, exec_lo, s1
	s_waitcnt lgkmcnt(0)
	s_barrier
	buffer_gl0_inv
	s_and_saveexec_b32 s1, s0
	s_cbranch_execz .LBB2_170
; %bb.169:
	s_load_dwordx2 s[0:1], s[4:5], 0x10
	ds_read_b32 v0, v3
	s_waitcnt lgkmcnt(0)
	global_atomic_add v3, v0, s[0:1]
	ds_read_b32 v0, v3 offset:1024
	s_waitcnt lgkmcnt(0)
	global_atomic_add v3, v0, s[0:1] offset:1024
	ds_read_b32 v2, v3 offset:2048
	v_add_co_u32 v0, s0, s0, v3
	v_add_co_ci_u32_e64 v1, null, s1, 0, s0
	v_add_co_u32 v0, vcc_lo, 0x800, v0
	v_add_co_ci_u32_e64 v1, null, 0, v1, vcc_lo
	s_waitcnt lgkmcnt(0)
	global_atomic_add v[0:1], v2, off
	ds_read_b32 v2, v3 offset:3072
	s_waitcnt lgkmcnt(0)
	global_atomic_add v[0:1], v2, off offset:1024
.LBB2_170:
	s_endpgm
	.section	.rodata,"a",@progbits
	.p2align	6, 0x0
	.amdhsa_kernel GHistogram
		.amdhsa_group_segment_fixed_size 4100
		.amdhsa_private_segment_fixed_size 0
		.amdhsa_kernarg_size 40
		.amdhsa_user_sgpr_count 6
		.amdhsa_user_sgpr_private_segment_buffer 1
		.amdhsa_user_sgpr_dispatch_ptr 0
		.amdhsa_user_sgpr_queue_ptr 0
		.amdhsa_user_sgpr_kernarg_segment_ptr 1
		.amdhsa_user_sgpr_dispatch_id 0
		.amdhsa_user_sgpr_flat_scratch_init 0
		.amdhsa_user_sgpr_private_segment_size 0
		.amdhsa_wavefront_size32 1
		.amdhsa_uses_dynamic_stack 0
		.amdhsa_system_sgpr_private_segment_wavefront_offset 0
		.amdhsa_system_sgpr_workgroup_id_x 1
		.amdhsa_system_sgpr_workgroup_id_y 0
		.amdhsa_system_sgpr_workgroup_id_z 0
		.amdhsa_system_sgpr_workgroup_info 0
		.amdhsa_system_vgpr_workitem_id 0
		.amdhsa_next_free_vgpr 10
		.amdhsa_next_free_sgpr 15
		.amdhsa_reserve_vcc 1
		.amdhsa_reserve_flat_scratch 0
		.amdhsa_float_round_mode_32 0
		.amdhsa_float_round_mode_16_64 0
		.amdhsa_float_denorm_mode_32 3
		.amdhsa_float_denorm_mode_16_64 3
		.amdhsa_dx10_clamp 1
		.amdhsa_ieee_mode 1
		.amdhsa_fp16_overflow 0
		.amdhsa_workgroup_processor_mode 1
		.amdhsa_memory_ordered 1
		.amdhsa_forward_progress 1
		.amdhsa_shared_vgpr_count 0
		.amdhsa_exception_fp_ieee_invalid_op 0
		.amdhsa_exception_fp_denorm_src 0
		.amdhsa_exception_fp_ieee_div_zero 0
		.amdhsa_exception_fp_ieee_overflow 0
		.amdhsa_exception_fp_ieee_underflow 0
		.amdhsa_exception_fp_ieee_inexact 0
		.amdhsa_exception_int_div_zero 0
	.end_amdhsa_kernel
	.text
.Lfunc_end2:
	.size	GHistogram, .Lfunc_end2-GHistogram
                                        ; -- End function
	.set GHistogram.num_vgpr, 10
	.set GHistogram.num_agpr, 0
	.set GHistogram.numbered_sgpr, 15
	.set GHistogram.num_named_barrier, 0
	.set GHistogram.private_seg_size, 0
	.set GHistogram.uses_vcc, 1
	.set GHistogram.uses_flat_scratch, 0
	.set GHistogram.has_dyn_sized_stack, 0
	.set GHistogram.has_recursion, 0
	.set GHistogram.has_indirect_call, 0
	.section	.AMDGPU.csdata,"",@progbits
; Kernel info:
; codeLenInByte = 4272
; TotalNumSgprs: 17
; NumVgprs: 10
; ScratchSize: 0
; MemoryBound: 0
; FloatMode: 240
; IeeeMode: 1
; LDSByteSize: 4100 bytes/workgroup (compile time only)
; SGPRBlocks: 0
; VGPRBlocks: 1
; NumSGPRsForWavesPerEU: 17
; NumVGPRsForWavesPerEU: 10
; Occupancy: 16
; WaveLimiterHint : 1
; COMPUTE_PGM_RSRC2:SCRATCH_EN: 0
; COMPUTE_PGM_RSRC2:USER_SGPR: 6
; COMPUTE_PGM_RSRC2:TRAP_HANDLER: 0
; COMPUTE_PGM_RSRC2:TGID_X_EN: 1
; COMPUTE_PGM_RSRC2:TGID_Y_EN: 0
; COMPUTE_PGM_RSRC2:TGID_Z_EN: 0
; COMPUTE_PGM_RSRC2:TIDIG_COMP_CNT: 0
	.text
	.protected	OnesweepReorderKey64    ; -- Begin function OnesweepReorderKey64
	.globl	OnesweepReorderKey64
	.p2align	8
	.type	OnesweepReorderKey64,@function
OnesweepReorderKey64:                   ; @OnesweepReorderKey64
; %bb.0:
	s_clause 0x1
	s_load_dword s7, s[4:5], 0x10
	s_load_dwordx4 s[8:11], s[4:5], 0x0
	v_lshrrev_b32_e32 v18, 5, v0
	s_lshl_b32 s16, s6, 12
	v_mov_b32_e32 v1, 0
	v_and_b32_e32 v41, 31, v0
	v_lshlrev_b32_e32 v43, 1, v0
	v_lshl_or_b32 v42, v18, 9, s16
	s_mov_b32 s0, exec_lo
	v_mov_b32_e32 v2, v1
	v_mov_b32_e32 v3, v1
	;; [unrolled: 1-line block ×3, first 2 shown]
	v_or_b32_e32 v33, v42, v41
	v_mov_b32_e32 v5, v1
	v_mov_b32_e32 v6, v1
	;; [unrolled: 1-line block ×12, first 2 shown]
	ds_write_b16 v43, v1 offset:512
	ds_write_b16 v43, v1 offset:1024
	;; [unrolled: 1-line block ×8, first 2 shown]
	s_waitcnt lgkmcnt(0)
	s_barrier
	buffer_gl0_inv
	v_cmpx_gt_u32_e64 s7, v33
	s_cbranch_execz .LBB3_2
; %bb.1:
	v_mov_b32_e32 v34, v1
	v_mov_b32_e32 v17, v1
	;; [unrolled: 1-line block ×5, first 2 shown]
	v_lshlrev_b64 v[2:3], 2, v[33:34]
	v_mov_b32_e32 v7, v1
	v_mov_b32_e32 v8, v1
	;; [unrolled: 1-line block ×5, first 2 shown]
	v_add_co_u32 v2, vcc_lo, s8, v2
	v_add_co_ci_u32_e64 v3, null, s9, v3, vcc_lo
	v_mov_b32_e32 v12, v1
	v_mov_b32_e32 v13, v1
	;; [unrolled: 1-line block ×3, first 2 shown]
	global_load_dword v2, v[2:3], off
	v_mov_b32_e32 v3, v1
	v_mov_b32_e32 v15, v1
	;; [unrolled: 1-line block ×3, first 2 shown]
	s_waitcnt vmcnt(0)
	v_mov_b32_e32 v1, v2
	v_mov_b32_e32 v2, v3
	v_mov_b32_e32 v3, v4
	v_mov_b32_e32 v4, v5
	v_mov_b32_e32 v5, v6
	v_mov_b32_e32 v6, v7
	v_mov_b32_e32 v7, v8
	v_mov_b32_e32 v8, v9
	v_mov_b32_e32 v9, v10
	v_mov_b32_e32 v10, v11
	v_mov_b32_e32 v11, v12
	v_mov_b32_e32 v12, v13
	v_mov_b32_e32 v13, v14
	v_mov_b32_e32 v14, v15
	v_mov_b32_e32 v15, v16
	v_mov_b32_e32 v16, v17
.LBB3_2:
	s_or_b32 exec_lo, exec_lo, s0
	v_or_b32_e32 v17, 32, v33
	s_mov_b32 s0, exec_lo
	v_cmpx_gt_u32_e64 s7, v17
	s_cbranch_execz .LBB3_4
; %bb.3:
	v_mov_b32_e32 v34, 0
	v_lshlrev_b64 v[19:20], 2, v[33:34]
	v_add_co_u32 v19, vcc_lo, s8, v19
	v_add_co_ci_u32_e64 v20, null, s9, v20, vcc_lo
	global_load_dword v2, v[19:20], off offset:128
.LBB3_4:
	s_or_b32 exec_lo, exec_lo, s0
	v_or_b32_e32 v17, 64, v33
	s_mov_b32 s0, exec_lo
	v_cmpx_gt_u32_e64 s7, v17
	s_cbranch_execz .LBB3_6
; %bb.5:
	v_mov_b32_e32 v34, 0
	v_lshlrev_b64 v[19:20], 2, v[33:34]
	v_add_co_u32 v19, vcc_lo, s8, v19
	v_add_co_ci_u32_e64 v20, null, s9, v20, vcc_lo
	global_load_dword v3, v[19:20], off offset:256
.LBB3_6:
	;; [unrolled: 12-line block ×15, first 2 shown]
	s_or_b32 exec_lo, exec_lo, s0
	s_load_dwordx2 s[2:3], s[4:5], 0x30
	v_lshlrev_b32_e64 v19, v41, -1
	v_mov_b32_e32 v17, 0
	v_lshlrev_b32_e32 v44, 1, v18
	s_mov_b64 s[8:9], 0
	v_not_b32_e32 v34, v19
	v_mov_b32_e32 v18, v17
	v_mov_b32_e32 v19, v17
	;; [unrolled: 1-line block ×15, first 2 shown]
	s_waitcnt lgkmcnt(0)
	s_lshl_b32 s17, s3, 3
	s_add_i32 s17, s17, s2
	s_branch .LBB3_34
.LBB3_33:                               ;   in Loop: Header=BB3_34 Depth=1
	s_or_b32 exec_lo, exec_lo, s0
	v_and_b32_e32 v36, v37, v34
	v_add_nc_u32_e32 v33, 32, v33
	s_mov_b32 m0, s8
	s_add_u32 s8, s8, 1
	s_addc_u32 s9, s9, 0
	v_bcnt_u32_b32 v36, v36, 0
	s_cmp_eq_u32 s8, 16
	s_waitcnt lgkmcnt(0)
	s_barrier
	buffer_gl0_inv
	v_add_nc_u32_sdwa v35, v36, v35 dst_sel:DWORD dst_unused:UNUSED_PAD src0_sel:DWORD src1_sel:WORD_0
	v_movreld_b32_e32 v17, v35
	s_cbranch_scc1 .LBB3_36
.LBB3_34:                               ; =>This Inner Loop Header: Depth=1
	s_mov_b32 m0, s8
	v_cmp_gt_u32_e32 vcc_lo, s7, v33
	s_waitcnt vmcnt(0)
	v_movrels_b32_e32 v35, v1
	v_bfe_u32 v36, v35, s17, 1
	v_lshrrev_b32_e32 v37, s17, v35
	v_bfe_u32 v35, v35, s17, 8
	v_add_co_u32 v36, s0, v36, -1
	v_cndmask_b32_e64 v38, 0, 1, s0
	v_bfe_u32 v39, v37, 1, 1
	v_bfe_u32 v40, v37, 2, 1
	v_bfe_u32 v45, v37, 3, 1
	v_bfe_u32 v46, v37, 4, 1
	v_cmp_ne_u32_e64 s0, 0, v38
	v_add_co_u32 v38, s1, v39, -1
	v_cndmask_b32_e64 v39, 0, 1, s1
	v_add_co_u32 v40, s1, v40, -1
	v_xor_b32_e32 v36, s0, v36
	v_cndmask_b32_e64 v47, 0, 1, s1
	v_cmp_ne_u32_e64 s0, 0, v39
	v_add_co_u32 v39, s1, v45, -1
	v_and_b32_e32 v36, vcc_lo, v36
	v_cndmask_b32_e64 v45, 0, 1, s1
	v_xor_b32_e32 v38, s0, v38
	v_cmp_ne_u32_e64 s1, 0, v47
	v_add_co_u32 v46, s0, v46, -1
	v_cndmask_b32_e64 v47, 0, 1, s0
	v_and_b32_e32 v36, v36, v38
	v_bfe_u32 v38, v37, 5, 1
	v_cmp_ne_u32_e32 vcc_lo, 0, v45
	v_xor_b32_e32 v40, s1, v40
	v_cmp_ne_u32_e64 s0, 0, v47
	v_bfe_u32 v45, v37, 6, 1
	v_add_co_u32 v38, s1, v38, -1
	v_xor_b32_e32 v39, vcc_lo, v39
	v_and_b32_e32 v36, v36, v40
	v_cndmask_b32_e64 v40, 0, 1, s1
	v_xor_b32_e32 v46, s0, v46
	v_bfe_u32 v37, v37, 7, 1
	v_and_b32_e32 v36, v36, v39
	v_cmp_ne_u32_e32 vcc_lo, 0, v40
	v_add_co_u32 v39, s0, v45, -1
	v_cndmask_b32_e64 v40, 0, 1, s0
	v_and_b32_e32 v36, v36, v46
	v_xor_b32_e32 v38, vcc_lo, v38
	v_cmp_ne_u32_e32 vcc_lo, 0, v40
	v_and_b32_e32 v38, v36, v38
	v_lshlrev_b32_e32 v36, 4, v35
	v_xor_b32_e32 v39, vcc_lo, v39
	v_cmp_lt_u32_e32 vcc_lo, 0x7f, v35
	v_add_nc_u32_e32 v35, -1, v37
	v_or_b32_e32 v37, v44, v36
	v_and_b32_e32 v38, v38, v39
	v_xor_b32_e32 v39, vcc_lo, v35
	ds_read_u16 v35, v37 offset:512
	s_waitcnt lgkmcnt(0)
	s_barrier
	buffer_gl0_inv
	v_and_b32_e32 v37, v38, v39
	v_ffbl_b32_e32 v38, v37
	v_cmp_ne_u32_e32 vcc_lo, 0, v37
	v_cmp_eq_u32_e64 s0, v38, v41
	s_and_b32 s1, vcc_lo, s0
	s_and_saveexec_b32 s0, s1
	s_cbranch_execz .LBB3_33
; %bb.35:                               ;   in Loop: Header=BB3_34 Depth=1
	v_bcnt_u32_b32 v38, v37, v35
	v_add_nc_u32_e32 v36, v44, v36
	ds_write_b16 v36, v38 offset:512
	s_branch .LBB3_33
.LBB3_36:
	v_cmp_gt_u32_e32 vcc_lo, 0x100, v0
	s_barrier
	buffer_gl0_inv
	s_and_saveexec_b32 s0, vcc_lo
	s_cbranch_execz .LBB3_38
; %bb.37:
	v_lshlrev_b32_e32 v37, 4, v0
	ds_read2_b32 v[33:34], v37 offset0:130 offset1:131
	ds_read2_b32 v[35:36], v37 offset0:128 offset1:129
	s_waitcnt lgkmcnt(0)
	v_pk_add_u16 v34, v36, v34
	v_pk_add_u16 v33, v35, v33
	;; [unrolled: 1-line block ×3, first 2 shown]
	v_lshrrev_b32_e32 v34, 16, v33
	v_add_nc_u16 v33, v33, v34
	v_mad_i32_i24 v34, v0, -14, v37
	ds_write_b16 v34, v33
.LBB3_38:
	s_or_b32 exec_lo, exec_lo, s0
	s_clause 0x1
	s_load_dwordx4 s[12:15], s[4:5], 0x18
	s_load_dwordx2 s[4:5], s[4:5], 0x28
	v_cmp_eq_u32_e64 s0, 0, v0
	s_cmpk_gt_u32 s6, 0x3ff
	s_cselect_b32 s1, -1, 0
	s_and_b32 s1, s0, s1
	s_and_saveexec_b32 s2, s1
	s_cbranch_execz .LBB3_43
; %bb.39:
	v_mov_b32_e32 v33, 0
	s_branch .LBB3_41
.LBB3_40:                               ;   in Loop: Header=BB3_41 Depth=1
	s_or_b32 exec_lo, exec_lo, s8
	s_waitcnt vmcnt(0)
	v_readfirstlane_b32 s1, v34
	s_andn2_b32 s1, s1, 31
	s_addk_i32 s1, 0x3c0
	s_cmp_le_u32 s1, s6
	s_cbranch_scc0 .LBB3_43
.LBB3_41:                               ; =>This Inner Loop Header: Depth=1
	v_mbcnt_lo_u32_b32 v34, exec_lo, 0
	v_cmp_eq_u32_e64 s1, 0, v34
                                        ; implicit-def: $vgpr34
	s_and_saveexec_b32 s8, s1
	s_cbranch_execz .LBB3_40
; %bb.42:                               ;   in Loop: Header=BB3_41 Depth=1
	s_waitcnt lgkmcnt(0)
	global_load_dword v34, v33, s[4:5] glc dlc
	s_branch .LBB3_40
.LBB3_43:
	s_or_b32 exec_lo, exec_lo, s2
	s_waitcnt lgkmcnt(0)
	s_barrier
	buffer_gl0_inv
	s_and_saveexec_b32 s8, vcc_lo
	s_cbranch_execz .LBB3_51
; %bb.44:
	s_lshl_b32 s1, s6, 8
	ds_read_u16 v33, v43
	v_and_or_b32 v34, 0x3ff00, s1, v0
	v_mov_b32_e32 v36, 0
	v_lshl_or_b32 v35, s3, 8, v0
	s_and_b32 s9, s6, 0x3fffffff
	s_mov_b32 s3, 0
	v_lshlrev_b32_e32 v37, 3, v34
	s_or_b32 s1, s9, 2.0
	v_lshlrev_b64 v[39:40], 2, v[35:36]
	v_mov_b32_e32 v34, s1
	v_add_co_u32 v37, s1, s14, v37
	v_add_co_ci_u32_e64 v38, null, s15, 0, s1
	v_add_co_u32 v39, s1, s12, v39
	v_add_co_ci_u32_e64 v40, null, s13, v40, s1
	s_mov_b32 s12, s6
	s_waitcnt lgkmcnt(0)
	flat_store_dwordx2 v[37:38], v[33:34]
	s_waitcnt_vscnt null, 0x0
                                        ; implicit-def: $sgpr1
	global_load_dword v45, v[39:40], off
	s_branch .LBB3_46
	.p2align	6
.LBB3_45:                               ;   in Loop: Header=BB3_46 Depth=1
                                        ; implicit-def: $sgpr12
	s_and_b32 s2, exec_lo, s1
	s_or_b32 s3, s2, s3
	s_andn2_b32 exec_lo, exec_lo, s3
	s_cbranch_execz .LBB3_50
.LBB3_46:                               ; =>This Loop Header: Depth=1
                                        ;     Child Loop BB3_48 Depth 2
	s_or_b32 s1, s1, exec_lo
	s_cmp_lt_i32 s12, 1
	s_cbranch_scc1 .LBB3_45
; %bb.47:                               ;   in Loop: Header=BB3_46 Depth=1
	s_add_i32 s12, s12, -1
	s_mov_b32 s18, 0
	s_lshl_b32 s1, s12, 8
	v_and_or_b32 v34, 0x3ff00, s1, v0
	s_sub_i32 s1, s6, s12
	s_cmp_eq_u32 s1, 64
	s_cselect_b32 s13, 2, 3
	v_lshlrev_b32_e32 v34, 3, v34
	v_add_co_u32 v34, s1, s14, v34
	v_add_co_ci_u32_e64 v35, null, s15, 0, s1
.LBB3_48:                               ;   Parent Loop BB3_46 Depth=1
                                        ; =>  This Inner Loop Header: Depth=2
	flat_load_dwordx2 v[39:40], v[34:35] glc dlc
	s_waitcnt vmcnt(0) lgkmcnt(0)
	v_lshrrev_b32_e32 v46, 30, v40
	v_and_b32_e32 v40, 0x3fffffff, v40
	v_and_b32_e32 v47, s13, v46
	v_cmp_eq_u32_e64 s2, s12, v40
	v_cmp_ne_u32_e64 s1, 0, v47
	s_and_b32 s1, s1, s2
	s_and_b32 s1, exec_lo, s1
	s_or_b32 s18, s1, s18
	s_andn2_b32 exec_lo, exec_lo, s18
	s_cbranch_execnz .LBB3_48
; %bb.49:                               ;   in Loop: Header=BB3_46 Depth=1
	s_or_b32 exec_lo, exec_lo, s18
	v_add_nc_u32_e32 v36, v36, v39
	v_cmp_eq_u32_e64 s1, 2, v46
	s_and_b32 s2, exec_lo, s1
	s_or_b32 s3, s2, s3
	s_andn2_b32 exec_lo, exec_lo, s3
	s_cbranch_execnz .LBB3_46
.LBB3_50:
	s_or_b32 exec_lo, exec_lo, s3
	s_bitset1_b32 s9, 31
	v_add_nc_u32_e32 v33, v36, v33
	v_mov_b32_e32 v34, s9
	s_waitcnt vmcnt(0)
	v_add_nc_u32_e32 v35, v36, v45
	v_lshlrev_b32_e32 v36, 2, v0
	flat_store_dwordx2 v[37:38], v[33:34]
	s_waitcnt_vscnt null, 0x0
	ds_write_b32 v36, v35 offset:20480
.LBB3_51:
	s_or_b32 exec_lo, exec_lo, s8
; %bb.52:
	s_waitcnt lgkmcnt(0)
	s_barrier
	buffer_gl0_inv
	s_and_saveexec_b32 s1, s0
	s_cbranch_execz .LBB3_58
; %bb.53:
	v_mov_b32_e32 v33, 0
	s_branch .LBB3_55
.LBB3_54:                               ;   in Loop: Header=BB3_55 Depth=1
	s_or_b32 exec_lo, exec_lo, s2
	s_waitcnt vmcnt(0)
	v_readfirstlane_b32 s0, v34
	s_xor_b32 s0, s0, s6
	s_cmp_gt_u32 s0, 31
	s_cbranch_scc0 .LBB3_57
.LBB3_55:                               ; =>This Inner Loop Header: Depth=1
	v_mbcnt_lo_u32_b32 v34, exec_lo, 0
	v_cmp_eq_u32_e64 s0, 0, v34
                                        ; implicit-def: $vgpr34
	s_and_saveexec_b32 s2, s0
	s_cbranch_execz .LBB3_54
; %bb.56:                               ;   in Loop: Header=BB3_55 Depth=1
	global_load_dword v34, v33, s[4:5] glc dlc
	s_branch .LBB3_54
.LBB3_57:
	s_add_i32 s0, s7, 0xfff
	v_mov_b32_e32 v33, 0
	s_lshr_b32 s0, s0, 12
	s_add_i32 s0, s0, -1
	v_mov_b32_e32 v34, s0
	global_atomic_inc v33, v34, s[4:5]
.LBB3_58:
	s_or_b32 exec_lo, exec_lo, s1
	v_cmp_gt_u32_e64 s0, 0x100, v0
	v_mov_b32_e32 v33, 0
	s_waitcnt_vscnt null, 0x0
	s_barrier
	buffer_gl0_inv
	s_and_saveexec_b32 s1, s0
; %bb.59:
	ds_read_u16 v33, v43
; %bb.60:
	s_or_b32 exec_lo, exec_lo, s1
	v_or_b32_e32 v35, 0xffffff00, v0
	s_waitcnt lgkmcnt(0)
	v_mov_b32_e32 v34, v33
	s_mov_b32 s2, exec_lo
	v_cmpx_lt_u32_e32 0xffffff00, v35
	s_cbranch_execz .LBB3_62
; %bb.61:
	v_add_nc_u32_e32 v34, -2, v43
	ds_read_u16 v34, v34
	s_waitcnt lgkmcnt(0)
	v_add_nc_u16 v34, v34, v33
.LBB3_62:
	s_or_b32 exec_lo, exec_lo, s2
	s_barrier
	buffer_gl0_inv
	s_and_saveexec_b32 s1, s0
; %bb.63:
	ds_write_b16 v43, v34
; %bb.64:
	s_or_b32 exec_lo, exec_lo, s1
	s_mov_b32 s2, exec_lo
	s_waitcnt lgkmcnt(0)
	s_barrier
	buffer_gl0_inv
	v_cmpx_lt_u32_e32 0xffffff01, v35
	s_cbranch_execz .LBB3_66
; %bb.65:
	v_add_nc_u32_e32 v36, -4, v43
	ds_read_u16 v36, v36
	s_waitcnt lgkmcnt(0)
	v_add_nc_u16 v34, v36, v34
.LBB3_66:
	s_or_b32 exec_lo, exec_lo, s2
	s_barrier
	buffer_gl0_inv
	s_and_saveexec_b32 s1, s0
; %bb.67:
	ds_write_b16 v43, v34
; %bb.68:
	s_or_b32 exec_lo, exec_lo, s1
	s_mov_b32 s2, exec_lo
	s_waitcnt lgkmcnt(0)
	s_barrier
	buffer_gl0_inv
	v_cmpx_lt_u32_e32 0xffffff03, v35
	s_cbranch_execz .LBB3_70
; %bb.69:
	v_add_nc_u32_e32 v36, -8, v43
	ds_read_u16 v36, v36
	s_waitcnt lgkmcnt(0)
	v_add_nc_u16 v34, v36, v34
.LBB3_70:
	s_or_b32 exec_lo, exec_lo, s2
	s_barrier
	buffer_gl0_inv
	s_and_saveexec_b32 s1, s0
; %bb.71:
	ds_write_b16 v43, v34
; %bb.72:
	s_or_b32 exec_lo, exec_lo, s1
	s_mov_b32 s2, exec_lo
	s_waitcnt lgkmcnt(0)
	s_barrier
	buffer_gl0_inv
	v_cmpx_lt_u32_e32 0xffffff07, v35
	s_cbranch_execz .LBB3_74
; %bb.73:
	v_add_nc_u32_e32 v36, -16, v43
	ds_read_u16 v36, v36
	s_waitcnt lgkmcnt(0)
	v_add_nc_u16 v34, v36, v34
.LBB3_74:
	s_or_b32 exec_lo, exec_lo, s2
	s_barrier
	buffer_gl0_inv
	s_and_saveexec_b32 s1, s0
; %bb.75:
	ds_write_b16 v43, v34
; %bb.76:
	s_or_b32 exec_lo, exec_lo, s1
	s_mov_b32 s2, exec_lo
	s_waitcnt lgkmcnt(0)
	s_barrier
	buffer_gl0_inv
	v_cmpx_lt_u32_e32 0xffffff0f, v35
	s_cbranch_execz .LBB3_78
; %bb.77:
	v_subrev_nc_u32_e32 v36, 32, v43
	ds_read_u16 v36, v36
	s_waitcnt lgkmcnt(0)
	v_add_nc_u16 v34, v36, v34
.LBB3_78:
	s_or_b32 exec_lo, exec_lo, s2
	s_barrier
	buffer_gl0_inv
	s_and_saveexec_b32 s1, s0
; %bb.79:
	ds_write_b16 v43, v34
; %bb.80:
	s_or_b32 exec_lo, exec_lo, s1
	s_mov_b32 s2, exec_lo
	s_waitcnt lgkmcnt(0)
	s_barrier
	buffer_gl0_inv
	v_cmpx_lt_u32_e32 0xffffff1f, v35
	s_cbranch_execz .LBB3_82
; %bb.81:
	v_subrev_nc_u32_e32 v36, 64, v43
	ds_read_u16 v36, v36
	s_waitcnt lgkmcnt(0)
	v_add_nc_u16 v34, v36, v34
.LBB3_82:
	s_or_b32 exec_lo, exec_lo, s2
	s_barrier
	buffer_gl0_inv
	s_and_saveexec_b32 s1, s0
; %bb.83:
	ds_write_b16 v43, v34
; %bb.84:
	s_or_b32 exec_lo, exec_lo, s1
	s_mov_b32 s2, exec_lo
	s_waitcnt lgkmcnt(0)
	s_barrier
	buffer_gl0_inv
	v_cmpx_lt_u32_e32 0xffffff3f, v35
	s_cbranch_execz .LBB3_86
; %bb.85:
	v_add_nc_u32_e32 v35, 0xffffff80, v43
	ds_read_u16 v35, v35
	s_waitcnt lgkmcnt(0)
	v_add_nc_u16 v34, v35, v34
.LBB3_86:
	s_or_b32 exec_lo, exec_lo, s2
	s_barrier
	buffer_gl0_inv
	s_and_saveexec_b32 s1, s0
; %bb.87:
	ds_write_b16 v43, v34
; %bb.88:
	s_or_b32 exec_lo, exec_lo, s1
	v_and_b32_e32 v35, 0x80, v0
	s_mov_b32 s2, exec_lo
	s_waitcnt lgkmcnt(0)
	s_barrier
	buffer_gl0_inv
	v_cmpx_ne_u32_e32 0, v35
	s_cbranch_execz .LBB3_90
; %bb.89:
	v_add_nc_u32_e32 v35, 0xffffff00, v43
	ds_read_u16 v35, v35
	s_waitcnt lgkmcnt(0)
	v_add_nc_u16 v34, v35, v34
.LBB3_90:
	s_or_b32 exec_lo, exec_lo, s2
	s_barrier
	buffer_gl0_inv
	s_and_saveexec_b32 s1, s0
; %bb.91:
	ds_write_b16 v43, v34
; %bb.92:
	s_or_b32 exec_lo, exec_lo, s1
	s_waitcnt lgkmcnt(0)
	s_barrier
	buffer_gl0_inv
	s_barrier
	buffer_gl0_inv
	s_and_saveexec_b32 s1, s0
; %bb.93:
	v_sub_nc_u16 v33, v34, v33
	ds_write_b16 v43, v33
; %bb.94:
	s_or_b32 exec_lo, exec_lo, s1
	v_lshlrev_b32_e32 v33, 2, v0
	s_waitcnt lgkmcnt(0)
	s_barrier
	buffer_gl0_inv
	s_and_saveexec_b32 s0, vcc_lo
	s_cbranch_execz .LBB3_96
; %bb.95:
	v_mad_u32_u24 v37, v0, 14, v43
	v_lshlrev_b32_e32 v39, 2, v0
	ds_read_u16 v38, v43
	ds_read2_b32 v[34:35], v37 offset0:128 offset1:129
	ds_read_b32 v36, v39 offset:20480
	ds_read_b32 v40, v37 offset:520
	ds_read_u16 v43, v37 offset:524
	s_waitcnt lgkmcnt(2)
	v_sub_nc_u32_sdwa v48, v36, v38 dst_sel:DWORD dst_unused:UNUSED_PAD src0_sel:DWORD src1_sel:WORD_0
	v_add_nc_u32_sdwa v45, v34, v38 dst_sel:DWORD dst_unused:UNUSED_PAD src0_sel:WORD_0 src1_sel:WORD_0
	s_waitcnt lgkmcnt(1)
	v_lshrrev_b32_e32 v47, 16, v40
	v_add_nc_u32_sdwa v34, v45, v34 dst_sel:DWORD dst_unused:UNUSED_PAD src0_sel:DWORD src1_sel:WORD_1
	v_add_nc_u32_sdwa v46, v34, v35 dst_sel:DWORD dst_unused:UNUSED_PAD src0_sel:DWORD src1_sel:WORD_0
	v_perm_b32 v34, v34, v45, 0x5040100
	v_add_nc_u32_sdwa v35, v46, v35 dst_sel:DWORD dst_unused:UNUSED_PAD src0_sel:DWORD src1_sel:WORD_1
	v_add_nc_u16 v40, v40, v35
	v_perm_b32 v35, v35, v46, 0x5040100
	v_add_nc_u16 v47, v47, v40
	v_perm_b32 v36, v47, v40, 0x5040100
	s_waitcnt lgkmcnt(0)
	v_add_nc_u16 v40, v43, v47
	ds_write_b16 v37, v38 offset:512
	ds_write_b32 v39, v48 offset:20480
	ds_write_b96 v37, v[34:36] offset:514
	ds_write_b16 v37, v40 offset:526
.LBB3_96:
	s_or_b32 exec_lo, exec_lo, s0
	v_lshrrev_b32_e32 v34, s17, v1
	v_lshrrev_b32_e32 v45, s17, v9
	;; [unrolled: 1-line block ×16, first 2 shown]
	v_lshlrev_b32_e32 v34, 4, v34
	v_lshlrev_b32_e32 v45, 4, v45
	;; [unrolled: 1-line block ×16, first 2 shown]
	v_and_or_b32 v34, 0xff0, v34, v44
	v_and_or_b32 v45, 0xff0, v45, v44
	v_and_or_b32 v35, 0xff0, v35, v44
	v_and_or_b32 v46, 0xff0, v46, v44
	v_and_or_b32 v36, 0xff0, v36, v44
	v_and_or_b32 v47, 0xff0, v47, v44
	v_and_or_b32 v37, 0xff0, v37, v44
	v_and_or_b32 v48, 0xff0, v48, v44
	v_and_or_b32 v38, 0xff0, v38, v44
	v_and_or_b32 v39, 0xff0, v39, v44
	v_and_or_b32 v40, 0xff0, v40, v44
	v_and_or_b32 v43, 0xff0, v43, v44
	v_and_or_b32 v49, 0xff0, v49, v44
	v_and_or_b32 v50, 0xff0, v50, v44
	v_and_or_b32 v51, 0xff0, v51, v44
	v_and_or_b32 v44, 0xff0, v52, v44
	s_waitcnt lgkmcnt(0)
	s_barrier
	buffer_gl0_inv
	ds_read_u16 v34, v34 offset:512
	ds_read_u16 v35, v35 offset:512
	;; [unrolled: 1-line block ×16, first 2 shown]
	s_mov_b64 s[0:1], 0
	s_mov_b32 s2, 0
	s_waitcnt lgkmcnt(0)
	s_barrier
	buffer_gl0_inv
	v_add_nc_u32_e32 v17, v17, v34
	v_add_nc_u32_e32 v18, v18, v35
	;; [unrolled: 1-line block ×16, first 2 shown]
	s_branch .LBB3_98
	.p2align	6
.LBB3_97:                               ;   in Loop: Header=BB3_98 Depth=1
	s_or_b32 exec_lo, exec_lo, s3
	v_add_nc_u32_e32 v34, 32, v41
	v_cmp_lt_u32_e32 vcc_lo, 0x1df, v41
	s_add_u32 s0, s0, 1
	s_addc_u32 s1, s1, 0
	v_mov_b32_e32 v41, v34
	s_or_b32 s2, vcc_lo, s2
	s_andn2_b32 exec_lo, exec_lo, s2
	s_cbranch_execz .LBB3_100
.LBB3_98:                               ; =>This Inner Loop Header: Depth=1
	v_add_nc_u32_e32 v34, v42, v41
	s_mov_b32 s3, exec_lo
	v_cmpx_gt_u32_e64 s7, v34
	s_cbranch_execz .LBB3_97
; %bb.99:                               ;   in Loop: Header=BB3_98 Depth=1
	s_mov_b32 m0, s0
	v_movrels_b32_e32 v34, v17
	v_movrels_b32_e32 v35, v1
	v_lshlrev_b32_e32 v34, 2, v34
	ds_write_b32 v34, v35
	s_branch .LBB3_97
.LBB3_100:
	s_or_b32 exec_lo, exec_lo, s2
	v_mov_b32_e32 v2, 0
	s_mov_b32 s0, 0
	s_waitcnt lgkmcnt(0)
	s_barrier
	buffer_gl0_inv
	s_inst_prefetch 0x1
	s_branch .LBB3_102
	.p2align	6
.LBB3_101:                              ;   in Loop: Header=BB3_102 Depth=1
	s_or_b32 exec_lo, exec_lo, s1
	v_add_nc_u32_e32 v1, 0x100, v0
	v_cmp_lt_u32_e32 vcc_lo, 0xeff, v0
	v_add_nc_u32_e32 v33, 0x400, v33
	v_mov_b32_e32 v0, v1
	s_or_b32 s0, vcc_lo, s0
	s_andn2_b32 exec_lo, exec_lo, s0
	s_cbranch_execz .LBB3_104
.LBB3_102:                              ; =>This Inner Loop Header: Depth=1
	v_add_nc_u32_e32 v1, s16, v0
	s_mov_b32 s1, exec_lo
	v_cmpx_gt_u32_e64 s7, v1
	s_cbranch_execz .LBB3_101
; %bb.103:                              ;   in Loop: Header=BB3_102 Depth=1
	ds_read_b32 v5, v33
	s_waitcnt lgkmcnt(0)
	v_bfe_u32 v1, v5, s17, 8
	v_lshlrev_b32_e32 v1, 2, v1
	ds_read_b32 v1, v1 offset:20480
	s_waitcnt lgkmcnt(0)
	v_add_nc_u32_e32 v1, v0, v1
	v_lshlrev_b64 v[3:4], 2, v[1:2]
	v_add_co_u32 v3, vcc_lo, s10, v3
	v_add_co_ci_u32_e64 v4, null, s11, v4, vcc_lo
	global_store_dword v[3:4], v5, off
	s_branch .LBB3_101
.LBB3_104:
	s_inst_prefetch 0x2
	s_endpgm
	.section	.rodata,"a",@progbits
	.p2align	6, 0x0
	.amdhsa_kernel OnesweepReorderKey64
		.amdhsa_group_segment_fixed_size 21504
		.amdhsa_private_segment_fixed_size 0
		.amdhsa_kernarg_size 56
		.amdhsa_user_sgpr_count 6
		.amdhsa_user_sgpr_private_segment_buffer 1
		.amdhsa_user_sgpr_dispatch_ptr 0
		.amdhsa_user_sgpr_queue_ptr 0
		.amdhsa_user_sgpr_kernarg_segment_ptr 1
		.amdhsa_user_sgpr_dispatch_id 0
		.amdhsa_user_sgpr_flat_scratch_init 0
		.amdhsa_user_sgpr_private_segment_size 0
		.amdhsa_wavefront_size32 1
		.amdhsa_uses_dynamic_stack 0
		.amdhsa_system_sgpr_private_segment_wavefront_offset 0
		.amdhsa_system_sgpr_workgroup_id_x 1
		.amdhsa_system_sgpr_workgroup_id_y 0
		.amdhsa_system_sgpr_workgroup_id_z 0
		.amdhsa_system_sgpr_workgroup_info 0
		.amdhsa_system_vgpr_workitem_id 0
		.amdhsa_next_free_vgpr 65
		.amdhsa_next_free_sgpr 19
		.amdhsa_reserve_vcc 1
		.amdhsa_reserve_flat_scratch 0
		.amdhsa_float_round_mode_32 0
		.amdhsa_float_round_mode_16_64 0
		.amdhsa_float_denorm_mode_32 3
		.amdhsa_float_denorm_mode_16_64 3
		.amdhsa_dx10_clamp 1
		.amdhsa_ieee_mode 1
		.amdhsa_fp16_overflow 0
		.amdhsa_workgroup_processor_mode 1
		.amdhsa_memory_ordered 1
		.amdhsa_forward_progress 1
		.amdhsa_shared_vgpr_count 0
		.amdhsa_exception_fp_ieee_invalid_op 0
		.amdhsa_exception_fp_denorm_src 0
		.amdhsa_exception_fp_ieee_div_zero 0
		.amdhsa_exception_fp_ieee_overflow 0
		.amdhsa_exception_fp_ieee_underflow 0
		.amdhsa_exception_fp_ieee_inexact 0
		.amdhsa_exception_int_div_zero 0
	.end_amdhsa_kernel
	.text
.Lfunc_end3:
	.size	OnesweepReorderKey64, .Lfunc_end3-OnesweepReorderKey64
                                        ; -- End function
	.set OnesweepReorderKey64.num_vgpr, 53
	.set OnesweepReorderKey64.num_agpr, 0
	.set OnesweepReorderKey64.numbered_sgpr, 19
	.set OnesweepReorderKey64.num_named_barrier, 0
	.set OnesweepReorderKey64.private_seg_size, 0
	.set OnesweepReorderKey64.uses_vcc, 1
	.set OnesweepReorderKey64.uses_flat_scratch, 0
	.set OnesweepReorderKey64.has_dyn_sized_stack, 0
	.set OnesweepReorderKey64.has_recursion, 0
	.set OnesweepReorderKey64.has_indirect_call, 0
	.section	.AMDGPU.csdata,"",@progbits
; Kernel info:
; codeLenInByte = 4564
; TotalNumSgprs: 21
; NumVgprs: 53
; ScratchSize: 0
; MemoryBound: 0
; FloatMode: 240
; IeeeMode: 1
; LDSByteSize: 21504 bytes/workgroup (compile time only)
; SGPRBlocks: 0
; VGPRBlocks: 8
; NumSGPRsForWavesPerEU: 21
; NumVGPRsForWavesPerEU: 65
; Occupancy: 12
; WaveLimiterHint : 0
; COMPUTE_PGM_RSRC2:SCRATCH_EN: 0
; COMPUTE_PGM_RSRC2:USER_SGPR: 6
; COMPUTE_PGM_RSRC2:TRAP_HANDLER: 0
; COMPUTE_PGM_RSRC2:TGID_X_EN: 1
; COMPUTE_PGM_RSRC2:TGID_Y_EN: 0
; COMPUTE_PGM_RSRC2:TGID_Z_EN: 0
; COMPUTE_PGM_RSRC2:TIDIG_COMP_CNT: 0
	.text
	.protected	OnesweepReorderKeyPair64 ; -- Begin function OnesweepReorderKeyPair64
	.globl	OnesweepReorderKeyPair64
	.p2align	8
	.type	OnesweepReorderKeyPair64,@function
OnesweepReorderKeyPair64:               ; @OnesweepReorderKeyPair64
; %bb.0:
	s_clause 0x1
	s_load_dword s7, s[4:5], 0x20
	s_load_dwordx8 s[8:15], s[4:5], 0x0
	v_lshrrev_b32_e32 v18, 5, v0
	s_lshl_b32 s20, s6, 12
	v_mov_b32_e32 v1, 0
	v_and_b32_e32 v41, 31, v0
	v_lshlrev_b32_e32 v43, 1, v0
	v_lshl_or_b32 v42, v18, 9, s20
	s_mov_b32 s0, exec_lo
	v_mov_b32_e32 v2, v1
	v_mov_b32_e32 v3, v1
	;; [unrolled: 1-line block ×3, first 2 shown]
	v_or_b32_e32 v33, v42, v41
	v_mov_b32_e32 v5, v1
	v_mov_b32_e32 v6, v1
	v_mov_b32_e32 v7, v1
	v_mov_b32_e32 v8, v1
	v_mov_b32_e32 v9, v1
	v_mov_b32_e32 v10, v1
	v_mov_b32_e32 v11, v1
	v_mov_b32_e32 v12, v1
	v_mov_b32_e32 v13, v1
	v_mov_b32_e32 v14, v1
	v_mov_b32_e32 v15, v1
	v_mov_b32_e32 v16, v1
	ds_write_b16 v43, v1 offset:512
	ds_write_b16 v43, v1 offset:1024
	;; [unrolled: 1-line block ×8, first 2 shown]
	s_waitcnt lgkmcnt(0)
	s_barrier
	buffer_gl0_inv
	v_cmpx_gt_u32_e64 s7, v33
	s_cbranch_execz .LBB4_2
; %bb.1:
	v_mov_b32_e32 v34, v1
	v_mov_b32_e32 v17, v1
	;; [unrolled: 1-line block ×5, first 2 shown]
	v_lshlrev_b64 v[2:3], 2, v[33:34]
	v_mov_b32_e32 v7, v1
	v_mov_b32_e32 v8, v1
	;; [unrolled: 1-line block ×5, first 2 shown]
	v_add_co_u32 v2, vcc_lo, s8, v2
	v_add_co_ci_u32_e64 v3, null, s9, v3, vcc_lo
	v_mov_b32_e32 v12, v1
	v_mov_b32_e32 v13, v1
	;; [unrolled: 1-line block ×3, first 2 shown]
	global_load_dword v2, v[2:3], off
	v_mov_b32_e32 v3, v1
	v_mov_b32_e32 v15, v1
	;; [unrolled: 1-line block ×3, first 2 shown]
	s_waitcnt vmcnt(0)
	v_mov_b32_e32 v1, v2
	v_mov_b32_e32 v2, v3
	;; [unrolled: 1-line block ×16, first 2 shown]
.LBB4_2:
	s_or_b32 exec_lo, exec_lo, s0
	v_or_b32_e32 v17, 32, v33
	s_mov_b32 s0, exec_lo
	v_cmpx_gt_u32_e64 s7, v17
	s_cbranch_execz .LBB4_4
; %bb.3:
	v_mov_b32_e32 v34, 0
	v_lshlrev_b64 v[19:20], 2, v[33:34]
	v_add_co_u32 v19, vcc_lo, s8, v19
	v_add_co_ci_u32_e64 v20, null, s9, v20, vcc_lo
	global_load_dword v2, v[19:20], off offset:128
.LBB4_4:
	s_or_b32 exec_lo, exec_lo, s0
	v_or_b32_e32 v17, 64, v33
	s_mov_b32 s0, exec_lo
	v_cmpx_gt_u32_e64 s7, v17
	s_cbranch_execz .LBB4_6
; %bb.5:
	v_mov_b32_e32 v34, 0
	v_lshlrev_b64 v[19:20], 2, v[33:34]
	v_add_co_u32 v19, vcc_lo, s8, v19
	v_add_co_ci_u32_e64 v20, null, s9, v20, vcc_lo
	global_load_dword v3, v[19:20], off offset:256
.LBB4_6:
	s_or_b32 exec_lo, exec_lo, s0
	v_or_b32_e32 v17, 0x60, v33
	s_mov_b32 s0, exec_lo
	v_cmpx_gt_u32_e64 s7, v17
	s_cbranch_execz .LBB4_8
; %bb.7:
	v_mov_b32_e32 v34, 0
	v_lshlrev_b64 v[19:20], 2, v[33:34]
	v_add_co_u32 v19, vcc_lo, s8, v19
	v_add_co_ci_u32_e64 v20, null, s9, v20, vcc_lo
	global_load_dword v4, v[19:20], off offset:384
.LBB4_8:
	s_or_b32 exec_lo, exec_lo, s0
	v_or_b32_e32 v17, 0x80, v33
	s_mov_b32 s0, exec_lo
	v_cmpx_gt_u32_e64 s7, v17
	s_cbranch_execz .LBB4_10
; %bb.9:
	v_mov_b32_e32 v34, 0
	v_lshlrev_b64 v[19:20], 2, v[33:34]
	v_add_co_u32 v19, vcc_lo, s8, v19
	v_add_co_ci_u32_e64 v20, null, s9, v20, vcc_lo
	global_load_dword v5, v[19:20], off offset:512
.LBB4_10:
	s_or_b32 exec_lo, exec_lo, s0
	v_or_b32_e32 v17, 0xa0, v33
	s_mov_b32 s0, exec_lo
	v_cmpx_gt_u32_e64 s7, v17
	s_cbranch_execz .LBB4_12
; %bb.11:
	v_mov_b32_e32 v34, 0
	v_lshlrev_b64 v[19:20], 2, v[33:34]
	v_add_co_u32 v19, vcc_lo, s8, v19
	v_add_co_ci_u32_e64 v20, null, s9, v20, vcc_lo
	global_load_dword v6, v[19:20], off offset:640
.LBB4_12:
	s_or_b32 exec_lo, exec_lo, s0
	v_or_b32_e32 v17, 0xc0, v33
	s_mov_b32 s0, exec_lo
	v_cmpx_gt_u32_e64 s7, v17
	s_cbranch_execz .LBB4_14
; %bb.13:
	v_mov_b32_e32 v34, 0
	v_lshlrev_b64 v[19:20], 2, v[33:34]
	v_add_co_u32 v19, vcc_lo, s8, v19
	v_add_co_ci_u32_e64 v20, null, s9, v20, vcc_lo
	global_load_dword v7, v[19:20], off offset:768
.LBB4_14:
	s_or_b32 exec_lo, exec_lo, s0
	v_or_b32_e32 v17, 0xe0, v33
	s_mov_b32 s0, exec_lo
	v_cmpx_gt_u32_e64 s7, v17
	s_cbranch_execz .LBB4_16
; %bb.15:
	v_mov_b32_e32 v34, 0
	v_lshlrev_b64 v[19:20], 2, v[33:34]
	v_add_co_u32 v19, vcc_lo, s8, v19
	v_add_co_ci_u32_e64 v20, null, s9, v20, vcc_lo
	global_load_dword v8, v[19:20], off offset:896
.LBB4_16:
	s_or_b32 exec_lo, exec_lo, s0
	v_or_b32_e32 v17, 0x100, v33
	s_mov_b32 s0, exec_lo
	v_cmpx_gt_u32_e64 s7, v17
	s_cbranch_execz .LBB4_18
; %bb.17:
	v_mov_b32_e32 v34, 0
	v_lshlrev_b64 v[19:20], 2, v[33:34]
	v_add_co_u32 v19, vcc_lo, s8, v19
	v_add_co_ci_u32_e64 v20, null, s9, v20, vcc_lo
	global_load_dword v9, v[19:20], off offset:1024
.LBB4_18:
	s_or_b32 exec_lo, exec_lo, s0
	v_or_b32_e32 v17, 0x120, v33
	s_mov_b32 s0, exec_lo
	v_cmpx_gt_u32_e64 s7, v17
	s_cbranch_execz .LBB4_20
; %bb.19:
	v_mov_b32_e32 v34, 0
	v_lshlrev_b64 v[19:20], 2, v[33:34]
	v_add_co_u32 v19, vcc_lo, s8, v19
	v_add_co_ci_u32_e64 v20, null, s9, v20, vcc_lo
	global_load_dword v10, v[19:20], off offset:1152
.LBB4_20:
	s_or_b32 exec_lo, exec_lo, s0
	v_or_b32_e32 v17, 0x140, v33
	s_mov_b32 s0, exec_lo
	v_cmpx_gt_u32_e64 s7, v17
	s_cbranch_execz .LBB4_22
; %bb.21:
	v_mov_b32_e32 v34, 0
	v_lshlrev_b64 v[19:20], 2, v[33:34]
	v_add_co_u32 v19, vcc_lo, s8, v19
	v_add_co_ci_u32_e64 v20, null, s9, v20, vcc_lo
	global_load_dword v11, v[19:20], off offset:1280
.LBB4_22:
	s_or_b32 exec_lo, exec_lo, s0
	v_or_b32_e32 v17, 0x160, v33
	s_mov_b32 s0, exec_lo
	v_cmpx_gt_u32_e64 s7, v17
	s_cbranch_execz .LBB4_24
; %bb.23:
	v_mov_b32_e32 v34, 0
	v_lshlrev_b64 v[19:20], 2, v[33:34]
	v_add_co_u32 v19, vcc_lo, s8, v19
	v_add_co_ci_u32_e64 v20, null, s9, v20, vcc_lo
	global_load_dword v12, v[19:20], off offset:1408
.LBB4_24:
	s_or_b32 exec_lo, exec_lo, s0
	v_or_b32_e32 v17, 0x180, v33
	s_mov_b32 s0, exec_lo
	v_cmpx_gt_u32_e64 s7, v17
	s_cbranch_execz .LBB4_26
; %bb.25:
	v_mov_b32_e32 v34, 0
	v_lshlrev_b64 v[19:20], 2, v[33:34]
	v_add_co_u32 v19, vcc_lo, s8, v19
	v_add_co_ci_u32_e64 v20, null, s9, v20, vcc_lo
	global_load_dword v13, v[19:20], off offset:1536
.LBB4_26:
	s_or_b32 exec_lo, exec_lo, s0
	v_or_b32_e32 v17, 0x1a0, v33
	s_mov_b32 s0, exec_lo
	v_cmpx_gt_u32_e64 s7, v17
	s_cbranch_execz .LBB4_28
; %bb.27:
	v_mov_b32_e32 v34, 0
	v_lshlrev_b64 v[19:20], 2, v[33:34]
	v_add_co_u32 v19, vcc_lo, s8, v19
	v_add_co_ci_u32_e64 v20, null, s9, v20, vcc_lo
	global_load_dword v14, v[19:20], off offset:1664
.LBB4_28:
	s_or_b32 exec_lo, exec_lo, s0
	v_or_b32_e32 v17, 0x1c0, v33
	s_mov_b32 s0, exec_lo
	v_cmpx_gt_u32_e64 s7, v17
	s_cbranch_execz .LBB4_30
; %bb.29:
	v_mov_b32_e32 v34, 0
	v_lshlrev_b64 v[19:20], 2, v[33:34]
	v_add_co_u32 v19, vcc_lo, s8, v19
	v_add_co_ci_u32_e64 v20, null, s9, v20, vcc_lo
	global_load_dword v15, v[19:20], off offset:1792
.LBB4_30:
	s_or_b32 exec_lo, exec_lo, s0
	v_or_b32_e32 v17, 0x1e0, v33
	s_mov_b32 s0, exec_lo
	v_cmpx_gt_u32_e64 s7, v17
	s_cbranch_execz .LBB4_32
; %bb.31:
	v_mov_b32_e32 v34, 0
	v_lshlrev_b64 v[16:17], 2, v[33:34]
	v_add_co_u32 v16, vcc_lo, s8, v16
	v_add_co_ci_u32_e64 v17, null, s9, v17, vcc_lo
	global_load_dword v16, v[16:17], off offset:1920
.LBB4_32:
	s_or_b32 exec_lo, exec_lo, s0
	s_load_dwordx2 s[2:3], s[4:5], 0x40
	v_lshlrev_b32_e64 v19, v41, -1
	v_mov_b32_e32 v17, 0
	v_lshlrev_b32_e32 v44, 1, v18
	s_mov_b64 s[8:9], 0
	v_not_b32_e32 v34, v19
	v_mov_b32_e32 v18, v17
	v_mov_b32_e32 v19, v17
	;; [unrolled: 1-line block ×15, first 2 shown]
	s_waitcnt lgkmcnt(0)
	s_lshl_b32 s21, s3, 3
	s_add_i32 s21, s21, s2
	s_branch .LBB4_34
.LBB4_33:                               ;   in Loop: Header=BB4_34 Depth=1
	s_or_b32 exec_lo, exec_lo, s0
	v_and_b32_e32 v36, v37, v34
	v_add_nc_u32_e32 v33, 32, v33
	s_mov_b32 m0, s8
	s_add_u32 s8, s8, 1
	s_addc_u32 s9, s9, 0
	v_bcnt_u32_b32 v36, v36, 0
	s_cmp_eq_u32 s8, 16
	s_waitcnt lgkmcnt(0)
	s_barrier
	buffer_gl0_inv
	v_add_nc_u32_sdwa v35, v36, v35 dst_sel:DWORD dst_unused:UNUSED_PAD src0_sel:DWORD src1_sel:WORD_0
	v_movreld_b32_e32 v17, v35
	s_cbranch_scc1 .LBB4_36
.LBB4_34:                               ; =>This Inner Loop Header: Depth=1
	s_mov_b32 m0, s8
	v_cmp_gt_u32_e32 vcc_lo, s7, v33
	s_waitcnt vmcnt(0)
	v_movrels_b32_e32 v35, v1
	v_bfe_u32 v36, v35, s21, 1
	v_lshrrev_b32_e32 v37, s21, v35
	v_bfe_u32 v35, v35, s21, 8
	v_add_co_u32 v36, s0, v36, -1
	v_cndmask_b32_e64 v38, 0, 1, s0
	v_bfe_u32 v39, v37, 1, 1
	v_bfe_u32 v40, v37, 2, 1
	v_bfe_u32 v45, v37, 3, 1
	v_bfe_u32 v46, v37, 4, 1
	v_cmp_ne_u32_e64 s0, 0, v38
	v_add_co_u32 v38, s1, v39, -1
	v_cndmask_b32_e64 v39, 0, 1, s1
	v_add_co_u32 v40, s1, v40, -1
	v_xor_b32_e32 v36, s0, v36
	v_cndmask_b32_e64 v47, 0, 1, s1
	v_cmp_ne_u32_e64 s0, 0, v39
	v_add_co_u32 v39, s1, v45, -1
	v_and_b32_e32 v36, vcc_lo, v36
	v_cndmask_b32_e64 v45, 0, 1, s1
	v_xor_b32_e32 v38, s0, v38
	v_cmp_ne_u32_e64 s1, 0, v47
	v_add_co_u32 v46, s0, v46, -1
	v_cndmask_b32_e64 v47, 0, 1, s0
	v_and_b32_e32 v36, v36, v38
	v_bfe_u32 v38, v37, 5, 1
	v_cmp_ne_u32_e32 vcc_lo, 0, v45
	v_xor_b32_e32 v40, s1, v40
	v_cmp_ne_u32_e64 s0, 0, v47
	v_bfe_u32 v45, v37, 6, 1
	v_add_co_u32 v38, s1, v38, -1
	v_xor_b32_e32 v39, vcc_lo, v39
	v_and_b32_e32 v36, v36, v40
	v_cndmask_b32_e64 v40, 0, 1, s1
	v_xor_b32_e32 v46, s0, v46
	v_bfe_u32 v37, v37, 7, 1
	v_and_b32_e32 v36, v36, v39
	v_cmp_ne_u32_e32 vcc_lo, 0, v40
	v_add_co_u32 v39, s0, v45, -1
	v_cndmask_b32_e64 v40, 0, 1, s0
	v_and_b32_e32 v36, v36, v46
	v_xor_b32_e32 v38, vcc_lo, v38
	v_cmp_ne_u32_e32 vcc_lo, 0, v40
	v_and_b32_e32 v38, v36, v38
	v_lshlrev_b32_e32 v36, 4, v35
	v_xor_b32_e32 v39, vcc_lo, v39
	v_cmp_lt_u32_e32 vcc_lo, 0x7f, v35
	v_add_nc_u32_e32 v35, -1, v37
	v_or_b32_e32 v37, v44, v36
	v_and_b32_e32 v38, v38, v39
	v_xor_b32_e32 v39, vcc_lo, v35
	ds_read_u16 v35, v37 offset:512
	s_waitcnt lgkmcnt(0)
	s_barrier
	buffer_gl0_inv
	v_and_b32_e32 v37, v38, v39
	v_ffbl_b32_e32 v38, v37
	v_cmp_ne_u32_e32 vcc_lo, 0, v37
	v_cmp_eq_u32_e64 s0, v38, v41
	s_and_b32 s1, vcc_lo, s0
	s_and_saveexec_b32 s0, s1
	s_cbranch_execz .LBB4_33
; %bb.35:                               ;   in Loop: Header=BB4_34 Depth=1
	v_bcnt_u32_b32 v38, v37, v35
	v_add_nc_u32_e32 v36, v44, v36
	ds_write_b16 v36, v38 offset:512
	s_branch .LBB4_33
.LBB4_36:
	v_cmp_gt_u32_e32 vcc_lo, 0x100, v0
	s_barrier
	buffer_gl0_inv
	s_and_saveexec_b32 s0, vcc_lo
	s_cbranch_execz .LBB4_38
; %bb.37:
	v_lshlrev_b32_e32 v37, 4, v0
	ds_read2_b32 v[33:34], v37 offset0:130 offset1:131
	ds_read2_b32 v[35:36], v37 offset0:128 offset1:129
	s_waitcnt lgkmcnt(0)
	v_pk_add_u16 v34, v36, v34
	v_pk_add_u16 v33, v35, v33
	;; [unrolled: 1-line block ×3, first 2 shown]
	v_lshrrev_b32_e32 v34, 16, v33
	v_add_nc_u16 v33, v33, v34
	v_mad_i32_i24 v34, v0, -14, v37
	ds_write_b16 v34, v33
.LBB4_38:
	s_or_b32 exec_lo, exec_lo, s0
	s_clause 0x1
	s_load_dwordx4 s[16:19], s[4:5], 0x28
	s_load_dwordx2 s[4:5], s[4:5], 0x38
	v_cmp_eq_u32_e64 s0, 0, v0
	s_cmpk_gt_u32 s6, 0x3ff
	s_cselect_b32 s1, -1, 0
	s_and_b32 s1, s0, s1
	s_and_saveexec_b32 s2, s1
	s_cbranch_execz .LBB4_43
; %bb.39:
	v_mov_b32_e32 v33, 0
	s_branch .LBB4_41
.LBB4_40:                               ;   in Loop: Header=BB4_41 Depth=1
	s_or_b32 exec_lo, exec_lo, s8
	s_waitcnt vmcnt(0)
	v_readfirstlane_b32 s1, v34
	s_andn2_b32 s1, s1, 31
	s_addk_i32 s1, 0x3c0
	s_cmp_le_u32 s1, s6
	s_cbranch_scc0 .LBB4_43
.LBB4_41:                               ; =>This Inner Loop Header: Depth=1
	v_mbcnt_lo_u32_b32 v34, exec_lo, 0
	v_cmp_eq_u32_e64 s1, 0, v34
                                        ; implicit-def: $vgpr34
	s_and_saveexec_b32 s8, s1
	s_cbranch_execz .LBB4_40
; %bb.42:                               ;   in Loop: Header=BB4_41 Depth=1
	s_waitcnt lgkmcnt(0)
	global_load_dword v34, v33, s[4:5] glc dlc
	s_branch .LBB4_40
.LBB4_43:
	s_or_b32 exec_lo, exec_lo, s2
	s_waitcnt lgkmcnt(0)
	s_barrier
	buffer_gl0_inv
	s_and_saveexec_b32 s8, vcc_lo
	s_cbranch_execz .LBB4_51
; %bb.44:
	s_lshl_b32 s1, s6, 8
	ds_read_u16 v33, v43
	v_and_or_b32 v34, 0x3ff00, s1, v0
	v_mov_b32_e32 v36, 0
	v_lshl_or_b32 v35, s3, 8, v0
	s_and_b32 s9, s6, 0x3fffffff
	s_mov_b32 s3, 0
	v_lshlrev_b32_e32 v37, 3, v34
	s_or_b32 s1, s9, 2.0
	v_lshlrev_b64 v[39:40], 2, v[35:36]
	v_mov_b32_e32 v34, s1
	v_add_co_u32 v37, s1, s18, v37
	v_add_co_ci_u32_e64 v38, null, s19, 0, s1
	v_add_co_u32 v39, s1, s16, v39
	v_add_co_ci_u32_e64 v40, null, s17, v40, s1
	s_mov_b32 s16, s6
	s_waitcnt lgkmcnt(0)
	flat_store_dwordx2 v[37:38], v[33:34]
	s_waitcnt_vscnt null, 0x0
                                        ; implicit-def: $sgpr1
	global_load_dword v45, v[39:40], off
	s_branch .LBB4_46
	.p2align	6
.LBB4_45:                               ;   in Loop: Header=BB4_46 Depth=1
                                        ; implicit-def: $sgpr16
	s_and_b32 s2, exec_lo, s1
	s_or_b32 s3, s2, s3
	s_andn2_b32 exec_lo, exec_lo, s3
	s_cbranch_execz .LBB4_50
.LBB4_46:                               ; =>This Loop Header: Depth=1
                                        ;     Child Loop BB4_48 Depth 2
	s_or_b32 s1, s1, exec_lo
	s_cmp_lt_i32 s16, 1
	s_cbranch_scc1 .LBB4_45
; %bb.47:                               ;   in Loop: Header=BB4_46 Depth=1
	s_add_i32 s16, s16, -1
	s_mov_b32 s22, 0
	s_lshl_b32 s1, s16, 8
	v_and_or_b32 v34, 0x3ff00, s1, v0
	s_sub_i32 s1, s6, s16
	s_cmp_eq_u32 s1, 64
	s_cselect_b32 s17, 2, 3
	v_lshlrev_b32_e32 v34, 3, v34
	v_add_co_u32 v34, s1, s18, v34
	v_add_co_ci_u32_e64 v35, null, s19, 0, s1
.LBB4_48:                               ;   Parent Loop BB4_46 Depth=1
                                        ; =>  This Inner Loop Header: Depth=2
	flat_load_dwordx2 v[39:40], v[34:35] glc dlc
	s_waitcnt vmcnt(0) lgkmcnt(0)
	v_lshrrev_b32_e32 v46, 30, v40
	v_and_b32_e32 v40, 0x3fffffff, v40
	v_and_b32_e32 v47, s17, v46
	v_cmp_eq_u32_e64 s2, s16, v40
	v_cmp_ne_u32_e64 s1, 0, v47
	s_and_b32 s1, s1, s2
	s_and_b32 s1, exec_lo, s1
	s_or_b32 s22, s1, s22
	s_andn2_b32 exec_lo, exec_lo, s22
	s_cbranch_execnz .LBB4_48
; %bb.49:                               ;   in Loop: Header=BB4_46 Depth=1
	s_or_b32 exec_lo, exec_lo, s22
	v_add_nc_u32_e32 v36, v36, v39
	v_cmp_eq_u32_e64 s1, 2, v46
	s_and_b32 s2, exec_lo, s1
	s_or_b32 s3, s2, s3
	s_andn2_b32 exec_lo, exec_lo, s3
	s_cbranch_execnz .LBB4_46
.LBB4_50:
	s_or_b32 exec_lo, exec_lo, s3
	s_bitset1_b32 s9, 31
	v_add_nc_u32_e32 v33, v36, v33
	v_mov_b32_e32 v34, s9
	s_waitcnt vmcnt(0)
	v_add_nc_u32_e32 v35, v36, v45
	v_lshlrev_b32_e32 v36, 2, v0
	flat_store_dwordx2 v[37:38], v[33:34]
	s_waitcnt_vscnt null, 0x0
	ds_write_b32 v36, v35 offset:20480
.LBB4_51:
	s_or_b32 exec_lo, exec_lo, s8
; %bb.52:
	s_waitcnt lgkmcnt(0)
	s_barrier
	buffer_gl0_inv
	s_and_saveexec_b32 s1, s0
	s_cbranch_execz .LBB4_58
; %bb.53:
	v_mov_b32_e32 v33, 0
	s_branch .LBB4_55
.LBB4_54:                               ;   in Loop: Header=BB4_55 Depth=1
	s_or_b32 exec_lo, exec_lo, s2
	s_waitcnt vmcnt(0)
	v_readfirstlane_b32 s0, v34
	s_xor_b32 s0, s0, s6
	s_cmp_gt_u32 s0, 31
	s_cbranch_scc0 .LBB4_57
.LBB4_55:                               ; =>This Inner Loop Header: Depth=1
	v_mbcnt_lo_u32_b32 v34, exec_lo, 0
	v_cmp_eq_u32_e64 s0, 0, v34
                                        ; implicit-def: $vgpr34
	s_and_saveexec_b32 s2, s0
	s_cbranch_execz .LBB4_54
; %bb.56:                               ;   in Loop: Header=BB4_55 Depth=1
	global_load_dword v34, v33, s[4:5] glc dlc
	s_branch .LBB4_54
.LBB4_57:
	s_add_i32 s0, s7, 0xfff
	v_mov_b32_e32 v33, 0
	s_lshr_b32 s0, s0, 12
	s_add_i32 s0, s0, -1
	v_mov_b32_e32 v34, s0
	global_atomic_inc v33, v34, s[4:5]
.LBB4_58:
	s_or_b32 exec_lo, exec_lo, s1
	v_cmp_gt_u32_e64 s0, 0x100, v0
	v_mov_b32_e32 v33, 0
	s_waitcnt_vscnt null, 0x0
	s_barrier
	buffer_gl0_inv
	s_and_saveexec_b32 s1, s0
; %bb.59:
	ds_read_u16 v33, v43
; %bb.60:
	s_or_b32 exec_lo, exec_lo, s1
	v_or_b32_e32 v35, 0xffffff00, v0
	s_waitcnt lgkmcnt(0)
	v_mov_b32_e32 v34, v33
	s_mov_b32 s2, exec_lo
	v_cmpx_lt_u32_e32 0xffffff00, v35
	s_cbranch_execz .LBB4_62
; %bb.61:
	v_add_nc_u32_e32 v34, -2, v43
	ds_read_u16 v34, v34
	s_waitcnt lgkmcnt(0)
	v_add_nc_u16 v34, v34, v33
.LBB4_62:
	s_or_b32 exec_lo, exec_lo, s2
	s_barrier
	buffer_gl0_inv
	s_and_saveexec_b32 s1, s0
; %bb.63:
	ds_write_b16 v43, v34
; %bb.64:
	s_or_b32 exec_lo, exec_lo, s1
	s_mov_b32 s2, exec_lo
	s_waitcnt lgkmcnt(0)
	s_barrier
	buffer_gl0_inv
	v_cmpx_lt_u32_e32 0xffffff01, v35
	s_cbranch_execz .LBB4_66
; %bb.65:
	v_add_nc_u32_e32 v36, -4, v43
	ds_read_u16 v36, v36
	s_waitcnt lgkmcnt(0)
	v_add_nc_u16 v34, v36, v34
.LBB4_66:
	s_or_b32 exec_lo, exec_lo, s2
	s_barrier
	buffer_gl0_inv
	s_and_saveexec_b32 s1, s0
; %bb.67:
	ds_write_b16 v43, v34
; %bb.68:
	s_or_b32 exec_lo, exec_lo, s1
	s_mov_b32 s2, exec_lo
	s_waitcnt lgkmcnt(0)
	s_barrier
	buffer_gl0_inv
	;; [unrolled: 20-line block ×4, first 2 shown]
	v_cmpx_lt_u32_e32 0xffffff0f, v35
	s_cbranch_execz .LBB4_78
; %bb.77:
	v_subrev_nc_u32_e32 v36, 32, v43
	ds_read_u16 v36, v36
	s_waitcnt lgkmcnt(0)
	v_add_nc_u16 v34, v36, v34
.LBB4_78:
	s_or_b32 exec_lo, exec_lo, s2
	s_barrier
	buffer_gl0_inv
	s_and_saveexec_b32 s1, s0
; %bb.79:
	ds_write_b16 v43, v34
; %bb.80:
	s_or_b32 exec_lo, exec_lo, s1
	s_mov_b32 s2, exec_lo
	s_waitcnt lgkmcnt(0)
	s_barrier
	buffer_gl0_inv
	v_cmpx_lt_u32_e32 0xffffff1f, v35
	s_cbranch_execz .LBB4_82
; %bb.81:
	v_subrev_nc_u32_e32 v36, 64, v43
	ds_read_u16 v36, v36
	s_waitcnt lgkmcnt(0)
	v_add_nc_u16 v34, v36, v34
.LBB4_82:
	s_or_b32 exec_lo, exec_lo, s2
	s_barrier
	buffer_gl0_inv
	s_and_saveexec_b32 s1, s0
; %bb.83:
	ds_write_b16 v43, v34
; %bb.84:
	s_or_b32 exec_lo, exec_lo, s1
	s_mov_b32 s2, exec_lo
	s_waitcnt lgkmcnt(0)
	s_barrier
	buffer_gl0_inv
	v_cmpx_lt_u32_e32 0xffffff3f, v35
	s_cbranch_execz .LBB4_86
; %bb.85:
	v_add_nc_u32_e32 v35, 0xffffff80, v43
	ds_read_u16 v35, v35
	s_waitcnt lgkmcnt(0)
	v_add_nc_u16 v34, v35, v34
.LBB4_86:
	s_or_b32 exec_lo, exec_lo, s2
	s_barrier
	buffer_gl0_inv
	s_and_saveexec_b32 s1, s0
; %bb.87:
	ds_write_b16 v43, v34
; %bb.88:
	s_or_b32 exec_lo, exec_lo, s1
	v_and_b32_e32 v35, 0x80, v0
	s_mov_b32 s2, exec_lo
	s_waitcnt lgkmcnt(0)
	s_barrier
	buffer_gl0_inv
	v_cmpx_ne_u32_e32 0, v35
	s_cbranch_execz .LBB4_90
; %bb.89:
	v_add_nc_u32_e32 v35, 0xffffff00, v43
	ds_read_u16 v35, v35
	s_waitcnt lgkmcnt(0)
	v_add_nc_u16 v34, v35, v34
.LBB4_90:
	s_or_b32 exec_lo, exec_lo, s2
	s_barrier
	buffer_gl0_inv
	s_and_saveexec_b32 s1, s0
; %bb.91:
	ds_write_b16 v43, v34
; %bb.92:
	s_or_b32 exec_lo, exec_lo, s1
	s_waitcnt lgkmcnt(0)
	s_barrier
	buffer_gl0_inv
	s_barrier
	buffer_gl0_inv
	s_and_saveexec_b32 s1, s0
; %bb.93:
	v_sub_nc_u16 v33, v34, v33
	ds_write_b16 v43, v33
; %bb.94:
	s_or_b32 exec_lo, exec_lo, s1
	v_lshlrev_b32_e32 v35, 2, v0
	s_waitcnt lgkmcnt(0)
	s_barrier
	buffer_gl0_inv
	s_and_saveexec_b32 s0, vcc_lo
	s_cbranch_execz .LBB4_96
; %bb.95:
	v_mad_u32_u24 v39, v0, 14, v43
	ds_read_u16 v40, v43
	ds_read2_b32 v[33:34], v39 offset0:128 offset1:129
	v_lshlrev_b32_e32 v43, 2, v0
	ds_read_b32 v36, v43 offset:20480
	ds_read_b32 v37, v39 offset:520
	ds_read_u16 v45, v39 offset:524
	s_waitcnt lgkmcnt(3)
	v_add_nc_u32_sdwa v38, v33, v40 dst_sel:DWORD dst_unused:UNUSED_PAD src0_sel:WORD_0 src1_sel:WORD_0
	s_waitcnt lgkmcnt(2)
	v_sub_nc_u32_sdwa v49, v36, v40 dst_sel:DWORD dst_unused:UNUSED_PAD src0_sel:DWORD src1_sel:WORD_0
	v_add_nc_u32_sdwa v33, v38, v33 dst_sel:DWORD dst_unused:UNUSED_PAD src0_sel:DWORD src1_sel:WORD_1
	s_waitcnt lgkmcnt(1)
	v_lshrrev_b32_e32 v47, 16, v37
	v_add_nc_u32_sdwa v46, v33, v34 dst_sel:DWORD dst_unused:UNUSED_PAD src0_sel:DWORD src1_sel:WORD_0
	v_perm_b32 v36, v33, v38, 0x5040100
	v_add_nc_u32_sdwa v34, v46, v34 dst_sel:DWORD dst_unused:UNUSED_PAD src0_sel:DWORD src1_sel:WORD_1
	v_add_nc_u16 v48, v37, v34
	v_perm_b32 v37, v34, v46, 0x5040100
	v_add_nc_u16 v47, v47, v48
	v_perm_b32 v38, v47, v48, 0x5040100
	s_waitcnt lgkmcnt(0)
	v_add_nc_u16 v33, v45, v47
	ds_write_b16 v39, v40 offset:512
	ds_write_b32 v43, v49 offset:20480
	ds_write_b96 v39, v[36:38] offset:514
	ds_write_b16 v39, v33 offset:526
.LBB4_96:
	s_or_b32 exec_lo, exec_lo, s0
	v_lshrrev_b32_e32 v33, s21, v1
	v_lshrrev_b32_e32 v45, s21, v9
	v_lshrrev_b32_e32 v34, s21, v2
	v_lshrrev_b32_e32 v46, s21, v10
	v_lshrrev_b32_e32 v36, s21, v3
	v_lshrrev_b32_e32 v47, s21, v11
	v_lshrrev_b32_e32 v37, s21, v4
	v_lshrrev_b32_e32 v48, s21, v12
	v_lshrrev_b32_e32 v38, s21, v5
	v_lshrrev_b32_e32 v39, s21, v6
	v_lshrrev_b32_e32 v40, s21, v7
	v_lshrrev_b32_e32 v43, s21, v8
	v_lshrrev_b32_e32 v49, s21, v13
	v_lshrrev_b32_e32 v50, s21, v14
	v_lshrrev_b32_e32 v51, s21, v15
	v_lshrrev_b32_e32 v52, s21, v16
	v_lshlrev_b32_e32 v33, 4, v33
	v_lshlrev_b32_e32 v45, 4, v45
	;; [unrolled: 1-line block ×16, first 2 shown]
	v_and_or_b32 v33, 0xff0, v33, v44
	v_and_or_b32 v45, 0xff0, v45, v44
	;; [unrolled: 1-line block ×16, first 2 shown]
	s_waitcnt lgkmcnt(0)
	s_barrier
	buffer_gl0_inv
	ds_read_u16 v33, v33 offset:512
	ds_read_u16 v34, v34 offset:512
	;; [unrolled: 1-line block ×16, first 2 shown]
	s_mov_b64 s[0:1], 0
	s_mov_b32 s2, 0
	s_waitcnt lgkmcnt(0)
	s_barrier
	buffer_gl0_inv
	v_add_nc_u32_e32 v17, v17, v33
	v_add_nc_u32_e32 v18, v18, v34
	;; [unrolled: 1-line block ×16, first 2 shown]
	v_mov_b32_e32 v33, v41
	s_branch .LBB4_98
	.p2align	6
.LBB4_97:                               ;   in Loop: Header=BB4_98 Depth=1
	s_or_b32 exec_lo, exec_lo, s3
	v_add_nc_u32_e32 v34, 32, v33
	v_cmp_lt_u32_e32 vcc_lo, 0x1df, v33
	s_add_u32 s0, s0, 1
	s_addc_u32 s1, s1, 0
	v_mov_b32_e32 v33, v34
	s_or_b32 s2, vcc_lo, s2
	s_andn2_b32 exec_lo, exec_lo, s2
	s_cbranch_execz .LBB4_100
.LBB4_98:                               ; =>This Inner Loop Header: Depth=1
	v_add_nc_u32_e32 v34, v42, v33
	s_mov_b32 s3, exec_lo
	v_cmpx_gt_u32_e64 s7, v34
	s_cbranch_execz .LBB4_97
; %bb.99:                               ;   in Loop: Header=BB4_98 Depth=1
	s_mov_b32 m0, s0
	v_movrels_b32_e32 v34, v17
	v_movrels_b32_e32 v36, v1
	v_lshlrev_b32_e32 v34, 2, v34
	ds_write_b32 v34, v36
	s_branch .LBB4_97
.LBB4_100:
	s_or_b32 exec_lo, exec_lo, s2
	v_mov_b32_e32 v34, 0
	v_mov_b32_e32 v36, v35
	v_mov_b32_e32 v37, v0
	s_mov_b32 s0, 0
	s_waitcnt lgkmcnt(0)
	s_barrier
	buffer_gl0_inv
	s_inst_prefetch 0x1
	s_branch .LBB4_102
	.p2align	6
.LBB4_101:                              ;   in Loop: Header=BB4_102 Depth=1
	s_or_b32 exec_lo, exec_lo, s1
	v_add_nc_u32_e32 v33, 0x100, v37
	v_cmp_lt_u32_e32 vcc_lo, 0xeff, v37
	v_add_nc_u32_e32 v36, 0x400, v36
	v_mov_b32_e32 v37, v33
	s_or_b32 s0, vcc_lo, s0
	s_andn2_b32 exec_lo, exec_lo, s0
	s_cbranch_execz .LBB4_104
.LBB4_102:                              ; =>This Inner Loop Header: Depth=1
	v_add_nc_u32_e32 v33, s20, v37
	s_mov_b32 s1, exec_lo
	v_cmpx_gt_u32_e64 s7, v33
	s_cbranch_execz .LBB4_101
; %bb.103:                              ;   in Loop: Header=BB4_102 Depth=1
	ds_read_b32 v40, v36
	s_waitcnt lgkmcnt(0)
	v_bfe_u32 v33, v40, s21, 8
	v_lshlrev_b32_e32 v33, 2, v33
	ds_read_b32 v33, v33 offset:20480
	s_waitcnt lgkmcnt(0)
	v_add_nc_u32_e32 v33, v37, v33
	v_lshlrev_b64 v[38:39], 2, v[33:34]
	v_add_co_u32 v38, vcc_lo, s10, v38
	v_add_co_ci_u32_e64 v39, null, s11, v39, vcc_lo
	global_store_dword v[38:39], v40, off
	s_branch .LBB4_101
.LBB4_104:
	s_inst_prefetch 0x2
	s_or_b32 exec_lo, exec_lo, s0
	v_mov_b32_e32 v34, 0
	s_mov_b64 s[0:1], 0
	s_mov_b32 s2, 0
	s_waitcnt_vscnt null, 0x0
	s_barrier
	buffer_gl0_inv
	s_inst_prefetch 0x1
	s_branch .LBB4_106
	.p2align	6
.LBB4_105:                              ;   in Loop: Header=BB4_106 Depth=1
	s_or_b32 exec_lo, exec_lo, s3
	v_add_nc_u32_e32 v33, 32, v41
	v_cmp_lt_u32_e32 vcc_lo, 0x1df, v41
	s_add_u32 s0, s0, 1
	s_addc_u32 s1, s1, 0
	v_mov_b32_e32 v41, v33
	s_or_b32 s2, vcc_lo, s2
	s_andn2_b32 exec_lo, exec_lo, s2
	s_cbranch_execz .LBB4_108
.LBB4_106:                              ; =>This Inner Loop Header: Depth=1
	v_add_nc_u32_e32 v33, v42, v41
	s_mov_b32 s3, exec_lo
	v_cmpx_gt_u32_e64 s7, v33
	s_cbranch_execz .LBB4_105
; %bb.107:                              ;   in Loop: Header=BB4_106 Depth=1
	v_lshlrev_b64 v[36:37], 2, v[33:34]
	s_mov_b32 m0, s0
	v_add_co_u32 v36, vcc_lo, s12, v36
	v_add_co_ci_u32_e64 v37, null, s13, v37, vcc_lo
	global_load_dword v33, v[36:37], off
	v_movrels_b32_e32 v36, v17
	v_movrels_b32_e32 v37, v1
	v_lshlrev_b32_e32 v38, 2, v36
	v_lshrrev_b32_e32 v37, s21, v37
	s_waitcnt vmcnt(0)
	ds_write_b32 v38, v33
	ds_write_b8 v36, v37 offset:16384
	s_branch .LBB4_105
.LBB4_108:
	s_inst_prefetch 0x2
	s_or_b32 exec_lo, exec_lo, s2
	v_mov_b32_e32 v2, 0
	s_mov_b32 s0, 0
	s_waitcnt lgkmcnt(0)
	s_barrier
	buffer_gl0_inv
	s_inst_prefetch 0x1
	s_branch .LBB4_110
	.p2align	6
.LBB4_109:                              ;   in Loop: Header=BB4_110 Depth=1
	s_or_b32 exec_lo, exec_lo, s1
	v_add_nc_u32_e32 v1, 0x100, v0
	v_cmp_lt_u32_e32 vcc_lo, 0xeff, v0
	v_add_nc_u32_e32 v35, 0x400, v35
	v_mov_b32_e32 v0, v1
	s_or_b32 s0, vcc_lo, s0
	s_andn2_b32 exec_lo, exec_lo, s0
	s_cbranch_execz .LBB4_112
.LBB4_110:                              ; =>This Inner Loop Header: Depth=1
	v_add_nc_u32_e32 v1, s20, v0
	s_mov_b32 s1, exec_lo
	v_cmpx_gt_u32_e64 s7, v1
	s_cbranch_execz .LBB4_109
; %bb.111:                              ;   in Loop: Header=BB4_110 Depth=1
	ds_read_u8 v1, v0 offset:16384
	s_waitcnt lgkmcnt(0)
	v_lshlrev_b32_e32 v1, 2, v1
	ds_read_b32 v1, v1 offset:20480
	ds_read_b32 v5, v35
	s_waitcnt lgkmcnt(1)
	v_add_nc_u32_e32 v1, v0, v1
	v_lshlrev_b64 v[3:4], 2, v[1:2]
	v_add_co_u32 v3, vcc_lo, s14, v3
	v_add_co_ci_u32_e64 v4, null, s15, v4, vcc_lo
	s_waitcnt lgkmcnt(0)
	global_store_dword v[3:4], v5, off
	s_branch .LBB4_109
.LBB4_112:
	s_inst_prefetch 0x2
	s_endpgm
	.section	.rodata,"a",@progbits
	.p2align	6, 0x0
	.amdhsa_kernel OnesweepReorderKeyPair64
		.amdhsa_group_segment_fixed_size 21504
		.amdhsa_private_segment_fixed_size 0
		.amdhsa_kernarg_size 72
		.amdhsa_user_sgpr_count 6
		.amdhsa_user_sgpr_private_segment_buffer 1
		.amdhsa_user_sgpr_dispatch_ptr 0
		.amdhsa_user_sgpr_queue_ptr 0
		.amdhsa_user_sgpr_kernarg_segment_ptr 1
		.amdhsa_user_sgpr_dispatch_id 0
		.amdhsa_user_sgpr_flat_scratch_init 0
		.amdhsa_user_sgpr_private_segment_size 0
		.amdhsa_wavefront_size32 1
		.amdhsa_uses_dynamic_stack 0
		.amdhsa_system_sgpr_private_segment_wavefront_offset 0
		.amdhsa_system_sgpr_workgroup_id_x 1
		.amdhsa_system_sgpr_workgroup_id_y 0
		.amdhsa_system_sgpr_workgroup_id_z 0
		.amdhsa_system_sgpr_workgroup_info 0
		.amdhsa_system_vgpr_workitem_id 0
		.amdhsa_next_free_vgpr 65
		.amdhsa_next_free_sgpr 23
		.amdhsa_reserve_vcc 1
		.amdhsa_reserve_flat_scratch 0
		.amdhsa_float_round_mode_32 0
		.amdhsa_float_round_mode_16_64 0
		.amdhsa_float_denorm_mode_32 3
		.amdhsa_float_denorm_mode_16_64 3
		.amdhsa_dx10_clamp 1
		.amdhsa_ieee_mode 1
		.amdhsa_fp16_overflow 0
		.amdhsa_workgroup_processor_mode 1
		.amdhsa_memory_ordered 1
		.amdhsa_forward_progress 1
		.amdhsa_shared_vgpr_count 0
		.amdhsa_exception_fp_ieee_invalid_op 0
		.amdhsa_exception_fp_denorm_src 0
		.amdhsa_exception_fp_ieee_div_zero 0
		.amdhsa_exception_fp_ieee_overflow 0
		.amdhsa_exception_fp_ieee_underflow 0
		.amdhsa_exception_fp_ieee_inexact 0
		.amdhsa_exception_int_div_zero 0
	.end_amdhsa_kernel
	.text
.Lfunc_end4:
	.size	OnesweepReorderKeyPair64, .Lfunc_end4-OnesweepReorderKeyPair64
                                        ; -- End function
	.set OnesweepReorderKeyPair64.num_vgpr, 53
	.set OnesweepReorderKeyPair64.num_agpr, 0
	.set OnesweepReorderKeyPair64.numbered_sgpr, 23
	.set OnesweepReorderKeyPair64.num_named_barrier, 0
	.set OnesweepReorderKeyPair64.private_seg_size, 0
	.set OnesweepReorderKeyPair64.uses_vcc, 1
	.set OnesweepReorderKeyPair64.uses_flat_scratch, 0
	.set OnesweepReorderKeyPair64.has_dyn_sized_stack, 0
	.set OnesweepReorderKeyPair64.has_recursion, 0
	.set OnesweepReorderKeyPair64.has_indirect_call, 0
	.section	.AMDGPU.csdata,"",@progbits
; Kernel info:
; codeLenInByte = 5016
; TotalNumSgprs: 25
; NumVgprs: 53
; ScratchSize: 0
; MemoryBound: 0
; FloatMode: 240
; IeeeMode: 1
; LDSByteSize: 21504 bytes/workgroup (compile time only)
; SGPRBlocks: 0
; VGPRBlocks: 8
; NumSGPRsForWavesPerEU: 25
; NumVGPRsForWavesPerEU: 65
; Occupancy: 12
; WaveLimiterHint : 0
; COMPUTE_PGM_RSRC2:SCRATCH_EN: 0
; COMPUTE_PGM_RSRC2:USER_SGPR: 6
; COMPUTE_PGM_RSRC2:TRAP_HANDLER: 0
; COMPUTE_PGM_RSRC2:TGID_X_EN: 1
; COMPUTE_PGM_RSRC2:TGID_Y_EN: 0
; COMPUTE_PGM_RSRC2:TGID_Z_EN: 0
; COMPUTE_PGM_RSRC2:TIDIG_COMP_CNT: 0
	.text
	.p2alignl 6, 3214868480
	.fill 48, 4, 3214868480
	.section	.AMDGPU.gpr_maximums,"",@progbits
	.set amdgpu.max_num_vgpr, 0
	.set amdgpu.max_num_agpr, 0
	.set amdgpu.max_num_sgpr, 0
	.text
	.type	__hip_cuid_a4f0d0a8f88710e5,@object ; @__hip_cuid_a4f0d0a8f88710e5
	.section	.bss,"aw",@nobits
	.globl	__hip_cuid_a4f0d0a8f88710e5
__hip_cuid_a4f0d0a8f88710e5:
	.byte	0                               ; 0x0
	.size	__hip_cuid_a4f0d0a8f88710e5, 1

	.ident	"AMD clang version 22.0.0git (https://github.com/RadeonOpenCompute/llvm-project roc-7.2.4 26084 f58b06dce1f9c15707c5f808fd002e18c2accf7e)"
	.section	".note.GNU-stack","",@progbits
	.addrsig
	.addrsig_sym __hip_cuid_a4f0d0a8f88710e5
	.amdgpu_metadata
---
amdhsa.kernels:
  - .args:
      - .address_space:  global
        .offset:         0
        .size:           8
        .value_kind:     global_buffer
      - .address_space:  global
        .offset:         8
        .size:           8
        .value_kind:     global_buffer
      - .offset:         16
        .size:           4
        .value_kind:     by_value
      - .offset:         20
        .size:           4
        .value_kind:     by_value
      - .offset:         24
        .size:           4
        .value_kind:     by_value
    .group_segment_fixed_size: 17456
    .kernarg_segment_align: 8
    .kernarg_segment_size: 28
    .language:       OpenCL C
    .language_version:
      - 2
      - 0
    .max_flat_workgroup_size: 1024
    .name:           SortSinglePassKernel
    .private_segment_fixed_size: 12
    .sgpr_count:     50
    .sgpr_spill_count: 0
    .symbol:         SortSinglePassKernel.kd
    .uniform_work_group_size: 1
    .uses_dynamic_stack: false
    .vgpr_count:     128
    .vgpr_spill_count: 2
    .wavefront_size: 32
    .workgroup_processor_mode: 1
  - .args:
      - .address_space:  global
        .offset:         0
        .size:           8
        .value_kind:     global_buffer
      - .address_space:  global
        .offset:         8
        .size:           8
        .value_kind:     global_buffer
      - .address_space:  global
        .offset:         16
        .size:           8
        .value_kind:     global_buffer
      - .address_space:  global
        .offset:         24
        .size:           8
        .value_kind:     global_buffer
      - .offset:         32
        .size:           4
        .value_kind:     by_value
      - .offset:         36
        .size:           4
        .value_kind:     by_value
      - .offset:         40
        .size:           4
        .value_kind:     by_value
    .group_segment_fixed_size: 29744
    .kernarg_segment_align: 8
    .kernarg_segment_size: 44
    .language:       OpenCL C
    .language_version:
      - 2
      - 0
    .max_flat_workgroup_size: 1024
    .name:           SortSinglePassKVKernel
    .private_segment_fixed_size: 116
    .sgpr_count:     54
    .sgpr_spill_count: 0
    .symbol:         SortSinglePassKVKernel.kd
    .uniform_work_group_size: 1
    .uses_dynamic_stack: false
    .vgpr_count:     128
    .vgpr_spill_count: 47
    .wavefront_size: 32
    .workgroup_processor_mode: 1
  - .args:
      - .address_space:  global
        .offset:         0
        .size:           8
        .value_kind:     global_buffer
      - .offset:         8
        .size:           4
        .value_kind:     by_value
      - .address_space:  global
        .offset:         16
        .size:           8
        .value_kind:     global_buffer
      - .offset:         24
        .size:           4
        .value_kind:     by_value
      - .address_space:  global
        .offset:         32
        .size:           8
        .value_kind:     global_buffer
    .group_segment_fixed_size: 4100
    .kernarg_segment_align: 8
    .kernarg_segment_size: 40
    .language:       OpenCL C
    .language_version:
      - 2
      - 0
    .max_flat_workgroup_size: 1024
    .name:           GHistogram
    .private_segment_fixed_size: 0
    .sgpr_count:     17
    .sgpr_spill_count: 0
    .symbol:         GHistogram.kd
    .uniform_work_group_size: 1
    .uses_dynamic_stack: false
    .vgpr_count:     10
    .vgpr_spill_count: 0
    .wavefront_size: 32
    .workgroup_processor_mode: 1
  - .args:
      - .address_space:  global
        .offset:         0
        .size:           8
        .value_kind:     global_buffer
      - .address_space:  global
        .offset:         8
        .size:           8
        .value_kind:     global_buffer
      - .offset:         16
        .size:           4
        .value_kind:     by_value
      - .address_space:  global
        .offset:         24
        .size:           8
        .value_kind:     global_buffer
      - .address_space:  global
        .offset:         32
        .size:           8
        .value_kind:     global_buffer
      - .address_space:  global
        .offset:         40
        .size:           8
        .value_kind:     global_buffer
      - .offset:         48
        .size:           4
        .value_kind:     by_value
      - .offset:         52
        .size:           4
        .value_kind:     by_value
    .group_segment_fixed_size: 21504
    .kernarg_segment_align: 8
    .kernarg_segment_size: 56
    .language:       OpenCL C
    .language_version:
      - 2
      - 0
    .max_flat_workgroup_size: 256
    .name:           OnesweepReorderKey64
    .private_segment_fixed_size: 0
    .sgpr_count:     21
    .sgpr_spill_count: 0
    .symbol:         OnesweepReorderKey64.kd
    .uniform_work_group_size: 1
    .uses_dynamic_stack: false
    .vgpr_count:     53
    .vgpr_spill_count: 0
    .wavefront_size: 32
    .workgroup_processor_mode: 1
  - .args:
      - .address_space:  global
        .offset:         0
        .size:           8
        .value_kind:     global_buffer
      - .address_space:  global
        .offset:         8
        .size:           8
        .value_kind:     global_buffer
      - .address_space:  global
        .offset:         16
        .size:           8
        .value_kind:     global_buffer
      - .address_space:  global
        .offset:         24
        .size:           8
        .value_kind:     global_buffer
      - .offset:         32
        .size:           4
        .value_kind:     by_value
      - .address_space:  global
        .offset:         40
        .size:           8
        .value_kind:     global_buffer
      - .address_space:  global
        .offset:         48
        .size:           8
        .value_kind:     global_buffer
      - .address_space:  global
        .offset:         56
        .size:           8
        .value_kind:     global_buffer
      - .offset:         64
        .size:           4
        .value_kind:     by_value
      - .offset:         68
        .size:           4
        .value_kind:     by_value
    .group_segment_fixed_size: 21504
    .kernarg_segment_align: 8
    .kernarg_segment_size: 72
    .language:       OpenCL C
    .language_version:
      - 2
      - 0
    .max_flat_workgroup_size: 256
    .name:           OnesweepReorderKeyPair64
    .private_segment_fixed_size: 0
    .sgpr_count:     25
    .sgpr_spill_count: 0
    .symbol:         OnesweepReorderKeyPair64.kd
    .uniform_work_group_size: 1
    .uses_dynamic_stack: false
    .vgpr_count:     53
    .vgpr_spill_count: 0
    .wavefront_size: 32
    .workgroup_processor_mode: 1
amdhsa.target:   amdgcn-amd-amdhsa--gfx1030
amdhsa.version:
  - 1
  - 2
...

	.end_amdgpu_metadata
